;; amdgpu-corpus repo=ROCm/rocFFT kind=compiled arch=gfx1201 opt=O3
	.text
	.amdgcn_target "amdgcn-amd-amdhsa--gfx1201"
	.amdhsa_code_object_version 6
	.protected	fft_rtc_fwd_len1400_factors_2_2_2_5_7_5_wgs_56_tpt_56_halfLds_dp_ip_CI_unitstride_sbrr_C2R_dirReg ; -- Begin function fft_rtc_fwd_len1400_factors_2_2_2_5_7_5_wgs_56_tpt_56_halfLds_dp_ip_CI_unitstride_sbrr_C2R_dirReg
	.globl	fft_rtc_fwd_len1400_factors_2_2_2_5_7_5_wgs_56_tpt_56_halfLds_dp_ip_CI_unitstride_sbrr_C2R_dirReg
	.p2align	8
	.type	fft_rtc_fwd_len1400_factors_2_2_2_5_7_5_wgs_56_tpt_56_halfLds_dp_ip_CI_unitstride_sbrr_C2R_dirReg,@function
fft_rtc_fwd_len1400_factors_2_2_2_5_7_5_wgs_56_tpt_56_halfLds_dp_ip_CI_unitstride_sbrr_C2R_dirReg: ; @fft_rtc_fwd_len1400_factors_2_2_2_5_7_5_wgs_56_tpt_56_halfLds_dp_ip_CI_unitstride_sbrr_C2R_dirReg
; %bb.0:
	s_clause 0x2
	s_load_b128 s[4:7], s[0:1], 0x0
	s_load_b64 s[8:9], s[0:1], 0x50
	s_load_b64 s[10:11], s[0:1], 0x18
	v_mul_u32_u24_e32 v1, 0x493, v0
	v_mov_b32_e32 v3, 0
	s_delay_alu instid0(VALU_DEP_2) | instskip(NEXT) | instid1(VALU_DEP_1)
	v_lshrrev_b32_e32 v1, 16, v1
	v_add_nc_u32_e32 v5, ttmp9, v1
	v_mov_b32_e32 v1, 0
	v_mov_b32_e32 v2, 0
	;; [unrolled: 1-line block ×3, first 2 shown]
	s_wait_kmcnt 0x0
	v_cmp_lt_u64_e64 s2, s[6:7], 2
	s_delay_alu instid0(VALU_DEP_1)
	s_and_b32 vcc_lo, exec_lo, s2
	s_cbranch_vccnz .LBB0_8
; %bb.1:
	s_load_b64 s[2:3], s[0:1], 0x10
	v_mov_b32_e32 v1, 0
	v_mov_b32_e32 v2, 0
	s_add_nc_u64 s[12:13], s[10:11], 8
	s_mov_b64 s[14:15], 1
	s_wait_kmcnt 0x0
	s_add_nc_u64 s[16:17], s[2:3], 8
	s_mov_b32 s3, 0
.LBB0_2:                                ; =>This Inner Loop Header: Depth=1
	s_load_b64 s[18:19], s[16:17], 0x0
                                        ; implicit-def: $vgpr7_vgpr8
	s_mov_b32 s2, exec_lo
	s_wait_kmcnt 0x0
	v_or_b32_e32 v4, s19, v6
	s_delay_alu instid0(VALU_DEP_1)
	v_cmpx_ne_u64_e32 0, v[3:4]
	s_wait_alu 0xfffe
	s_xor_b32 s20, exec_lo, s2
	s_cbranch_execz .LBB0_4
; %bb.3:                                ;   in Loop: Header=BB0_2 Depth=1
	s_cvt_f32_u32 s2, s18
	s_cvt_f32_u32 s21, s19
	s_sub_nc_u64 s[24:25], 0, s[18:19]
	s_wait_alu 0xfffe
	s_delay_alu instid0(SALU_CYCLE_1) | instskip(SKIP_1) | instid1(SALU_CYCLE_2)
	s_fmamk_f32 s2, s21, 0x4f800000, s2
	s_wait_alu 0xfffe
	v_s_rcp_f32 s2, s2
	s_delay_alu instid0(TRANS32_DEP_1) | instskip(SKIP_1) | instid1(SALU_CYCLE_2)
	s_mul_f32 s2, s2, 0x5f7ffffc
	s_wait_alu 0xfffe
	s_mul_f32 s21, s2, 0x2f800000
	s_wait_alu 0xfffe
	s_delay_alu instid0(SALU_CYCLE_2) | instskip(SKIP_1) | instid1(SALU_CYCLE_2)
	s_trunc_f32 s21, s21
	s_wait_alu 0xfffe
	s_fmamk_f32 s2, s21, 0xcf800000, s2
	s_cvt_u32_f32 s23, s21
	s_wait_alu 0xfffe
	s_delay_alu instid0(SALU_CYCLE_1) | instskip(SKIP_1) | instid1(SALU_CYCLE_2)
	s_cvt_u32_f32 s22, s2
	s_wait_alu 0xfffe
	s_mul_u64 s[26:27], s[24:25], s[22:23]
	s_wait_alu 0xfffe
	s_mul_hi_u32 s29, s22, s27
	s_mul_i32 s28, s22, s27
	s_mul_hi_u32 s2, s22, s26
	s_mul_i32 s30, s23, s26
	s_wait_alu 0xfffe
	s_add_nc_u64 s[28:29], s[2:3], s[28:29]
	s_mul_hi_u32 s21, s23, s26
	s_mul_hi_u32 s31, s23, s27
	s_add_co_u32 s2, s28, s30
	s_wait_alu 0xfffe
	s_add_co_ci_u32 s2, s29, s21
	s_mul_i32 s26, s23, s27
	s_add_co_ci_u32 s27, s31, 0
	s_wait_alu 0xfffe
	s_add_nc_u64 s[26:27], s[2:3], s[26:27]
	s_wait_alu 0xfffe
	v_add_co_u32 v4, s2, s22, s26
	s_delay_alu instid0(VALU_DEP_1) | instskip(SKIP_1) | instid1(VALU_DEP_1)
	s_cmp_lg_u32 s2, 0
	s_add_co_ci_u32 s23, s23, s27
	v_readfirstlane_b32 s22, v4
	s_wait_alu 0xfffe
	s_delay_alu instid0(VALU_DEP_1)
	s_mul_u64 s[24:25], s[24:25], s[22:23]
	s_wait_alu 0xfffe
	s_mul_hi_u32 s27, s22, s25
	s_mul_i32 s26, s22, s25
	s_mul_hi_u32 s2, s22, s24
	s_mul_i32 s28, s23, s24
	s_wait_alu 0xfffe
	s_add_nc_u64 s[26:27], s[2:3], s[26:27]
	s_mul_hi_u32 s21, s23, s24
	s_mul_hi_u32 s22, s23, s25
	s_wait_alu 0xfffe
	s_add_co_u32 s2, s26, s28
	s_add_co_ci_u32 s2, s27, s21
	s_mul_i32 s24, s23, s25
	s_add_co_ci_u32 s25, s22, 0
	s_wait_alu 0xfffe
	s_add_nc_u64 s[24:25], s[2:3], s[24:25]
	s_wait_alu 0xfffe
	v_add_co_u32 v4, s2, v4, s24
	s_delay_alu instid0(VALU_DEP_1) | instskip(SKIP_1) | instid1(VALU_DEP_1)
	s_cmp_lg_u32 s2, 0
	s_add_co_ci_u32 s2, s23, s25
	v_mul_hi_u32 v13, v5, v4
	s_wait_alu 0xfffe
	v_mad_co_u64_u32 v[7:8], null, v5, s2, 0
	v_mad_co_u64_u32 v[9:10], null, v6, v4, 0
	;; [unrolled: 1-line block ×3, first 2 shown]
	s_delay_alu instid0(VALU_DEP_3) | instskip(SKIP_1) | instid1(VALU_DEP_4)
	v_add_co_u32 v4, vcc_lo, v13, v7
	s_wait_alu 0xfffd
	v_add_co_ci_u32_e32 v7, vcc_lo, 0, v8, vcc_lo
	s_delay_alu instid0(VALU_DEP_2) | instskip(SKIP_1) | instid1(VALU_DEP_2)
	v_add_co_u32 v4, vcc_lo, v4, v9
	s_wait_alu 0xfffd
	v_add_co_ci_u32_e32 v4, vcc_lo, v7, v10, vcc_lo
	s_wait_alu 0xfffd
	v_add_co_ci_u32_e32 v7, vcc_lo, 0, v12, vcc_lo
	s_delay_alu instid0(VALU_DEP_2) | instskip(SKIP_1) | instid1(VALU_DEP_2)
	v_add_co_u32 v4, vcc_lo, v4, v11
	s_wait_alu 0xfffd
	v_add_co_ci_u32_e32 v9, vcc_lo, 0, v7, vcc_lo
	s_delay_alu instid0(VALU_DEP_2) | instskip(SKIP_1) | instid1(VALU_DEP_3)
	v_mul_lo_u32 v10, s19, v4
	v_mad_co_u64_u32 v[7:8], null, s18, v4, 0
	v_mul_lo_u32 v11, s18, v9
	s_delay_alu instid0(VALU_DEP_2) | instskip(NEXT) | instid1(VALU_DEP_2)
	v_sub_co_u32 v7, vcc_lo, v5, v7
	v_add3_u32 v8, v8, v11, v10
	s_delay_alu instid0(VALU_DEP_1) | instskip(SKIP_1) | instid1(VALU_DEP_1)
	v_sub_nc_u32_e32 v10, v6, v8
	s_wait_alu 0xfffd
	v_subrev_co_ci_u32_e64 v10, s2, s19, v10, vcc_lo
	v_add_co_u32 v11, s2, v4, 2
	s_wait_alu 0xf1ff
	v_add_co_ci_u32_e64 v12, s2, 0, v9, s2
	v_sub_co_u32 v13, s2, v7, s18
	v_sub_co_ci_u32_e32 v8, vcc_lo, v6, v8, vcc_lo
	s_wait_alu 0xf1ff
	v_subrev_co_ci_u32_e64 v10, s2, 0, v10, s2
	s_delay_alu instid0(VALU_DEP_3) | instskip(NEXT) | instid1(VALU_DEP_3)
	v_cmp_le_u32_e32 vcc_lo, s18, v13
	v_cmp_eq_u32_e64 s2, s19, v8
	s_wait_alu 0xfffd
	v_cndmask_b32_e64 v13, 0, -1, vcc_lo
	v_cmp_le_u32_e32 vcc_lo, s19, v10
	s_wait_alu 0xfffd
	v_cndmask_b32_e64 v14, 0, -1, vcc_lo
	v_cmp_le_u32_e32 vcc_lo, s18, v7
	;; [unrolled: 3-line block ×3, first 2 shown]
	s_wait_alu 0xfffd
	v_cndmask_b32_e64 v15, 0, -1, vcc_lo
	v_cmp_eq_u32_e32 vcc_lo, s19, v10
	s_wait_alu 0xf1ff
	s_delay_alu instid0(VALU_DEP_2)
	v_cndmask_b32_e64 v7, v15, v7, s2
	s_wait_alu 0xfffd
	v_cndmask_b32_e32 v10, v14, v13, vcc_lo
	v_add_co_u32 v13, vcc_lo, v4, 1
	s_wait_alu 0xfffd
	v_add_co_ci_u32_e32 v14, vcc_lo, 0, v9, vcc_lo
	s_delay_alu instid0(VALU_DEP_3) | instskip(SKIP_2) | instid1(VALU_DEP_3)
	v_cmp_ne_u32_e32 vcc_lo, 0, v10
	s_wait_alu 0xfffd
	v_cndmask_b32_e32 v10, v13, v11, vcc_lo
	v_cndmask_b32_e32 v8, v14, v12, vcc_lo
	v_cmp_ne_u32_e32 vcc_lo, 0, v7
	s_wait_alu 0xfffd
	s_delay_alu instid0(VALU_DEP_2)
	v_dual_cndmask_b32 v7, v4, v10 :: v_dual_cndmask_b32 v8, v9, v8
.LBB0_4:                                ;   in Loop: Header=BB0_2 Depth=1
	s_wait_alu 0xfffe
	s_and_not1_saveexec_b32 s2, s20
	s_cbranch_execz .LBB0_6
; %bb.5:                                ;   in Loop: Header=BB0_2 Depth=1
	v_cvt_f32_u32_e32 v4, s18
	s_sub_co_i32 s20, 0, s18
	s_delay_alu instid0(VALU_DEP_1) | instskip(NEXT) | instid1(TRANS32_DEP_1)
	v_rcp_iflag_f32_e32 v4, v4
	v_mul_f32_e32 v4, 0x4f7ffffe, v4
	s_delay_alu instid0(VALU_DEP_1) | instskip(SKIP_1) | instid1(VALU_DEP_1)
	v_cvt_u32_f32_e32 v4, v4
	s_wait_alu 0xfffe
	v_mul_lo_u32 v7, s20, v4
	s_delay_alu instid0(VALU_DEP_1) | instskip(NEXT) | instid1(VALU_DEP_1)
	v_mul_hi_u32 v7, v4, v7
	v_add_nc_u32_e32 v4, v4, v7
	s_delay_alu instid0(VALU_DEP_1) | instskip(NEXT) | instid1(VALU_DEP_1)
	v_mul_hi_u32 v4, v5, v4
	v_mul_lo_u32 v7, v4, s18
	v_add_nc_u32_e32 v8, 1, v4
	s_delay_alu instid0(VALU_DEP_2) | instskip(NEXT) | instid1(VALU_DEP_1)
	v_sub_nc_u32_e32 v7, v5, v7
	v_subrev_nc_u32_e32 v9, s18, v7
	v_cmp_le_u32_e32 vcc_lo, s18, v7
	s_wait_alu 0xfffd
	s_delay_alu instid0(VALU_DEP_2) | instskip(NEXT) | instid1(VALU_DEP_1)
	v_dual_cndmask_b32 v7, v7, v9 :: v_dual_cndmask_b32 v4, v4, v8
	v_cmp_le_u32_e32 vcc_lo, s18, v7
	s_delay_alu instid0(VALU_DEP_2) | instskip(SKIP_1) | instid1(VALU_DEP_1)
	v_add_nc_u32_e32 v8, 1, v4
	s_wait_alu 0xfffd
	v_dual_cndmask_b32 v7, v4, v8 :: v_dual_mov_b32 v8, v3
.LBB0_6:                                ;   in Loop: Header=BB0_2 Depth=1
	s_wait_alu 0xfffe
	s_or_b32 exec_lo, exec_lo, s2
	s_load_b64 s[20:21], s[12:13], 0x0
	s_delay_alu instid0(VALU_DEP_1)
	v_mul_lo_u32 v4, v8, s18
	v_mul_lo_u32 v11, v7, s19
	v_mad_co_u64_u32 v[9:10], null, v7, s18, 0
	s_add_nc_u64 s[14:15], s[14:15], 1
	s_add_nc_u64 s[12:13], s[12:13], 8
	s_wait_alu 0xfffe
	v_cmp_ge_u64_e64 s2, s[14:15], s[6:7]
	s_add_nc_u64 s[16:17], s[16:17], 8
	s_delay_alu instid0(VALU_DEP_2) | instskip(NEXT) | instid1(VALU_DEP_3)
	v_add3_u32 v4, v10, v11, v4
	v_sub_co_u32 v5, vcc_lo, v5, v9
	s_wait_alu 0xfffd
	s_delay_alu instid0(VALU_DEP_2) | instskip(SKIP_3) | instid1(VALU_DEP_2)
	v_sub_co_ci_u32_e32 v4, vcc_lo, v6, v4, vcc_lo
	s_and_b32 vcc_lo, exec_lo, s2
	s_wait_kmcnt 0x0
	v_mul_lo_u32 v6, s21, v5
	v_mul_lo_u32 v4, s20, v4
	v_mad_co_u64_u32 v[1:2], null, s20, v5, v[1:2]
	s_delay_alu instid0(VALU_DEP_1)
	v_add3_u32 v2, v6, v2, v4
	s_wait_alu 0xfffe
	s_cbranch_vccnz .LBB0_9
; %bb.7:                                ;   in Loop: Header=BB0_2 Depth=1
	v_dual_mov_b32 v5, v7 :: v_dual_mov_b32 v6, v8
	s_branch .LBB0_2
.LBB0_8:
	v_dual_mov_b32 v8, v6 :: v_dual_mov_b32 v7, v5
.LBB0_9:
	s_lshl_b64 s[2:3], s[6:7], 3
	v_mul_hi_u32 v5, 0x4924925, v0
	s_wait_alu 0xfffe
	s_add_nc_u64 s[2:3], s[10:11], s[2:3]
	s_load_b64 s[2:3], s[2:3], 0x0
	s_load_b64 s[0:1], s[0:1], 0x20
	s_wait_kmcnt 0x0
	v_mul_lo_u32 v3, s2, v8
	v_mul_lo_u32 v4, s3, v7
	v_mad_co_u64_u32 v[1:2], null, s2, v7, v[1:2]
	v_cmp_gt_u64_e32 vcc_lo, s[0:1], v[7:8]
	s_delay_alu instid0(VALU_DEP_2) | instskip(SKIP_1) | instid1(VALU_DEP_2)
	v_add3_u32 v2, v4, v2, v3
	v_mul_u32_u24_e32 v3, 56, v5
	v_lshlrev_b64_e32 v[122:123], 4, v[1:2]
	s_delay_alu instid0(VALU_DEP_2)
	v_sub_nc_u32_e32 v120, v0, v3
	s_and_saveexec_b32 s1, vcc_lo
	s_cbranch_execz .LBB0_13
; %bb.10:
	v_mov_b32_e32 v121, 0
	s_delay_alu instid0(VALU_DEP_3) | instskip(SKIP_2) | instid1(VALU_DEP_3)
	v_add_co_u32 v0, s0, s8, v122
	s_wait_alu 0xf1ff
	v_add_co_ci_u32_e64 v1, s0, s9, v123, s0
	v_lshlrev_b64_e32 v[2:3], 4, v[120:121]
	v_lshl_add_u32 v102, v120, 4, 0
	s_delay_alu instid0(VALU_DEP_2) | instskip(SKIP_1) | instid1(VALU_DEP_3)
	v_add_co_u32 v98, s0, v0, v2
	s_wait_alu 0xf1ff
	v_add_co_ci_u32_e64 v99, s0, v1, v3, s0
	v_cmp_eq_u32_e64 s0, 55, v120
	s_clause 0x18
	global_load_b128 v[2:5], v[98:99], off
	global_load_b128 v[6:9], v[98:99], off offset:896
	global_load_b128 v[10:13], v[98:99], off offset:1792
	;; [unrolled: 1-line block ×24, first 2 shown]
	s_wait_loadcnt 0x18
	ds_store_b128 v102, v[2:5]
	s_wait_loadcnt 0x17
	ds_store_b128 v102, v[6:9] offset:896
	s_wait_loadcnt 0x16
	ds_store_b128 v102, v[10:13] offset:1792
	;; [unrolled: 2-line block ×24, first 2 shown]
	s_and_saveexec_b32 s2, s0
	s_cbranch_execz .LBB0_12
; %bb.11:
	global_load_b128 v[0:3], v[0:1], off offset:22400
	v_mov_b32_e32 v120, 55
	s_wait_loadcnt 0x0
	ds_store_b128 v121, v[0:3] offset:22400
.LBB0_12:
	s_wait_alu 0xfffe
	s_or_b32 exec_lo, exec_lo, s2
.LBB0_13:
	s_wait_alu 0xfffe
	s_or_b32 exec_lo, exec_lo, s1
	v_lshlrev_b32_e32 v0, 4, v120
	global_wb scope:SCOPE_SE
	s_wait_dscnt 0x0
	s_barrier_signal -1
	s_barrier_wait -1
	global_inv scope:SCOPE_SE
	v_add_nc_u32_e32 v124, 0, v0
	v_sub_nc_u32_e32 v10, 0, v0
	s_mov_b32 s1, exec_lo
                                        ; implicit-def: $vgpr4_vgpr5
	ds_load_b64 v[6:7], v124
	ds_load_b64 v[8:9], v10 offset:22400
	s_wait_dscnt 0x0
	v_add_f64_e32 v[0:1], v[6:7], v[8:9]
	v_add_f64_e64 v[2:3], v[6:7], -v[8:9]
	v_cmpx_ne_u32_e32 0, v120
	s_wait_alu 0xfffe
	s_xor_b32 s1, exec_lo, s1
	s_cbranch_execz .LBB0_15
; %bb.14:
	v_mov_b32_e32 v121, 0
	v_add_f64_e32 v[13:14], v[6:7], v[8:9]
	v_add_f64_e64 v[15:16], v[6:7], -v[8:9]
	s_delay_alu instid0(VALU_DEP_3) | instskip(NEXT) | instid1(VALU_DEP_1)
	v_lshlrev_b64_e32 v[0:1], 4, v[120:121]
	v_add_co_u32 v0, s0, s4, v0
	s_wait_alu 0xf1ff
	s_delay_alu instid0(VALU_DEP_2)
	v_add_co_ci_u32_e64 v1, s0, s5, v1, s0
	global_load_b128 v[2:5], v[0:1], off offset:22368
	ds_load_b64 v[0:1], v10 offset:22408
	ds_load_b64 v[11:12], v124 offset:8
	s_wait_dscnt 0x0
	v_add_f64_e32 v[6:7], v[0:1], v[11:12]
	v_add_f64_e64 v[0:1], v[11:12], -v[0:1]
	s_wait_loadcnt 0x0
	v_fma_f64 v[8:9], v[15:16], v[4:5], v[13:14]
	v_fma_f64 v[11:12], -v[15:16], v[4:5], v[13:14]
	s_delay_alu instid0(VALU_DEP_3) | instskip(SKIP_1) | instid1(VALU_DEP_4)
	v_fma_f64 v[13:14], v[6:7], v[4:5], -v[0:1]
	v_fma_f64 v[4:5], v[6:7], v[4:5], v[0:1]
	v_fma_f64 v[0:1], -v[6:7], v[2:3], v[8:9]
	s_delay_alu instid0(VALU_DEP_4) | instskip(NEXT) | instid1(VALU_DEP_4)
	v_fma_f64 v[6:7], v[6:7], v[2:3], v[11:12]
	v_fma_f64 v[8:9], v[15:16], v[2:3], v[13:14]
	s_delay_alu instid0(VALU_DEP_4)
	v_fma_f64 v[2:3], v[15:16], v[2:3], v[4:5]
	v_dual_mov_b32 v4, v120 :: v_dual_mov_b32 v5, v121
	ds_store_b128 v10, v[6:9] offset:22400
.LBB0_15:
	s_wait_alu 0xfffe
	s_and_not1_saveexec_b32 s0, s1
	s_cbranch_execz .LBB0_17
; %bb.16:
	v_mov_b32_e32 v8, 0
	ds_load_b128 v[4:7], v8 offset:11200
	s_wait_dscnt 0x0
	v_add_f64_e32 v[11:12], v[4:5], v[4:5]
	v_mul_f64_e32 v[13:14], -2.0, v[6:7]
	v_mov_b32_e32 v4, 0
	v_mov_b32_e32 v5, 0
	ds_store_b128 v8, v[11:14] offset:11200
.LBB0_17:
	s_wait_alu 0xfffe
	s_or_b32 exec_lo, exec_lo, s0
	v_lshlrev_b64_e32 v[4:5], 4, v[4:5]
	s_add_nc_u64 s[0:1], s[4:5], 0x5760
	s_wait_alu 0xfffe
	s_delay_alu instid0(VALU_DEP_1) | instskip(SKIP_1) | instid1(VALU_DEP_2)
	v_add_co_u32 v4, s0, s0, v4
	s_wait_alu 0xf1ff
	v_add_co_ci_u32_e64 v5, s0, s1, v5, s0
	v_cmp_gt_u32_e64 s0, 28, v120
	s_clause 0x1
	global_load_b128 v[6:9], v[4:5], off offset:896
	global_load_b128 v[11:14], v[4:5], off offset:1792
	ds_store_b128 v124, v[0:3]
	ds_load_b128 v[0:3], v124 offset:896
	ds_load_b128 v[15:18], v10 offset:21504
	global_load_b128 v[19:22], v[4:5], off offset:2688
	s_wait_dscnt 0x0
	v_add_f64_e32 v[23:24], v[0:1], v[15:16]
	v_add_f64_e32 v[25:26], v[17:18], v[2:3]
	v_add_f64_e64 v[27:28], v[0:1], -v[15:16]
	v_add_f64_e64 v[0:1], v[2:3], -v[17:18]
	s_wait_loadcnt 0x2
	s_delay_alu instid0(VALU_DEP_2) | instskip(NEXT) | instid1(VALU_DEP_2)
	v_fma_f64 v[2:3], v[27:28], v[8:9], v[23:24]
	v_fma_f64 v[15:16], v[25:26], v[8:9], v[0:1]
	v_fma_f64 v[17:18], -v[27:28], v[8:9], v[23:24]
	v_fma_f64 v[8:9], v[25:26], v[8:9], -v[0:1]
	s_delay_alu instid0(VALU_DEP_4) | instskip(NEXT) | instid1(VALU_DEP_4)
	v_fma_f64 v[0:1], -v[25:26], v[6:7], v[2:3]
	v_fma_f64 v[2:3], v[27:28], v[6:7], v[15:16]
	s_delay_alu instid0(VALU_DEP_4) | instskip(NEXT) | instid1(VALU_DEP_4)
	v_fma_f64 v[15:16], v[25:26], v[6:7], v[17:18]
	v_fma_f64 v[17:18], v[27:28], v[6:7], v[8:9]
	ds_store_b128 v124, v[0:3] offset:896
	ds_store_b128 v10, v[15:18] offset:21504
	ds_load_b128 v[0:3], v124 offset:1792
	ds_load_b128 v[6:9], v10 offset:20608
	global_load_b128 v[15:18], v[4:5], off offset:3584
	s_wait_dscnt 0x0
	v_add_f64_e32 v[23:24], v[0:1], v[6:7]
	v_add_f64_e32 v[25:26], v[8:9], v[2:3]
	v_add_f64_e64 v[27:28], v[0:1], -v[6:7]
	v_add_f64_e64 v[0:1], v[2:3], -v[8:9]
	s_wait_loadcnt 0x2
	s_delay_alu instid0(VALU_DEP_2) | instskip(NEXT) | instid1(VALU_DEP_2)
	v_fma_f64 v[2:3], v[27:28], v[13:14], v[23:24]
	v_fma_f64 v[6:7], v[25:26], v[13:14], v[0:1]
	v_fma_f64 v[8:9], -v[27:28], v[13:14], v[23:24]
	v_fma_f64 v[13:14], v[25:26], v[13:14], -v[0:1]
	s_delay_alu instid0(VALU_DEP_4) | instskip(NEXT) | instid1(VALU_DEP_4)
	v_fma_f64 v[0:1], -v[25:26], v[11:12], v[2:3]
	v_fma_f64 v[2:3], v[27:28], v[11:12], v[6:7]
	s_delay_alu instid0(VALU_DEP_4) | instskip(NEXT) | instid1(VALU_DEP_4)
	v_fma_f64 v[6:7], v[25:26], v[11:12], v[8:9]
	v_fma_f64 v[8:9], v[27:28], v[11:12], v[13:14]
	ds_store_b128 v124, v[0:3] offset:1792
	ds_store_b128 v10, v[6:9] offset:20608
	ds_load_b128 v[0:3], v124 offset:2688
	ds_load_b128 v[6:9], v10 offset:19712
	global_load_b128 v[11:14], v[4:5], off offset:4480
	s_wait_dscnt 0x0
	v_add_f64_e32 v[23:24], v[0:1], v[6:7]
	v_add_f64_e32 v[25:26], v[8:9], v[2:3]
	v_add_f64_e64 v[27:28], v[0:1], -v[6:7]
	v_add_f64_e64 v[0:1], v[2:3], -v[8:9]
	s_wait_loadcnt 0x2
	s_delay_alu instid0(VALU_DEP_2) | instskip(NEXT) | instid1(VALU_DEP_2)
	v_fma_f64 v[2:3], v[27:28], v[21:22], v[23:24]
	v_fma_f64 v[6:7], v[25:26], v[21:22], v[0:1]
	v_fma_f64 v[8:9], -v[27:28], v[21:22], v[23:24]
	v_fma_f64 v[21:22], v[25:26], v[21:22], -v[0:1]
	s_delay_alu instid0(VALU_DEP_4) | instskip(NEXT) | instid1(VALU_DEP_4)
	v_fma_f64 v[0:1], -v[25:26], v[19:20], v[2:3]
	v_fma_f64 v[2:3], v[27:28], v[19:20], v[6:7]
	s_delay_alu instid0(VALU_DEP_4) | instskip(NEXT) | instid1(VALU_DEP_4)
	v_fma_f64 v[6:7], v[25:26], v[19:20], v[8:9]
	v_fma_f64 v[8:9], v[27:28], v[19:20], v[21:22]
	ds_store_b128 v124, v[0:3] offset:2688
	ds_store_b128 v10, v[6:9] offset:19712
	ds_load_b128 v[0:3], v124 offset:3584
	ds_load_b128 v[6:9], v10 offset:18816
	global_load_b128 v[19:22], v[4:5], off offset:5376
	s_wait_dscnt 0x0
	v_add_f64_e32 v[23:24], v[0:1], v[6:7]
	v_add_f64_e32 v[25:26], v[8:9], v[2:3]
	v_add_f64_e64 v[27:28], v[0:1], -v[6:7]
	v_add_f64_e64 v[0:1], v[2:3], -v[8:9]
	s_wait_loadcnt 0x2
	s_delay_alu instid0(VALU_DEP_2) | instskip(NEXT) | instid1(VALU_DEP_2)
	v_fma_f64 v[2:3], v[27:28], v[17:18], v[23:24]
	v_fma_f64 v[6:7], v[25:26], v[17:18], v[0:1]
	v_fma_f64 v[8:9], -v[27:28], v[17:18], v[23:24]
	v_fma_f64 v[17:18], v[25:26], v[17:18], -v[0:1]
	s_delay_alu instid0(VALU_DEP_4) | instskip(NEXT) | instid1(VALU_DEP_4)
	v_fma_f64 v[0:1], -v[25:26], v[15:16], v[2:3]
	v_fma_f64 v[2:3], v[27:28], v[15:16], v[6:7]
	s_delay_alu instid0(VALU_DEP_4) | instskip(NEXT) | instid1(VALU_DEP_4)
	v_fma_f64 v[6:7], v[25:26], v[15:16], v[8:9]
	v_fma_f64 v[8:9], v[27:28], v[15:16], v[17:18]
	ds_store_b128 v124, v[0:3] offset:3584
	ds_store_b128 v10, v[6:9] offset:18816
	ds_load_b128 v[0:3], v124 offset:4480
	ds_load_b128 v[6:9], v10 offset:17920
	global_load_b128 v[15:18], v[4:5], off offset:6272
	s_wait_dscnt 0x0
	v_add_f64_e32 v[23:24], v[0:1], v[6:7]
	v_add_f64_e32 v[25:26], v[8:9], v[2:3]
	v_add_f64_e64 v[27:28], v[0:1], -v[6:7]
	v_add_f64_e64 v[0:1], v[2:3], -v[8:9]
	s_wait_loadcnt 0x2
	s_delay_alu instid0(VALU_DEP_2) | instskip(NEXT) | instid1(VALU_DEP_2)
	v_fma_f64 v[2:3], v[27:28], v[13:14], v[23:24]
	v_fma_f64 v[6:7], v[25:26], v[13:14], v[0:1]
	v_fma_f64 v[8:9], -v[27:28], v[13:14], v[23:24]
	v_fma_f64 v[13:14], v[25:26], v[13:14], -v[0:1]
	s_delay_alu instid0(VALU_DEP_4) | instskip(NEXT) | instid1(VALU_DEP_4)
	v_fma_f64 v[0:1], -v[25:26], v[11:12], v[2:3]
	v_fma_f64 v[2:3], v[27:28], v[11:12], v[6:7]
	s_delay_alu instid0(VALU_DEP_4) | instskip(NEXT) | instid1(VALU_DEP_4)
	v_fma_f64 v[6:7], v[25:26], v[11:12], v[8:9]
	v_fma_f64 v[8:9], v[27:28], v[11:12], v[13:14]
	ds_store_b128 v124, v[0:3] offset:4480
	ds_store_b128 v10, v[6:9] offset:17920
	ds_load_b128 v[0:3], v124 offset:5376
	ds_load_b128 v[6:9], v10 offset:17024
	global_load_b128 v[11:14], v[4:5], off offset:7168
	s_wait_dscnt 0x0
	v_add_f64_e32 v[23:24], v[0:1], v[6:7]
	v_add_f64_e32 v[25:26], v[8:9], v[2:3]
	v_add_f64_e64 v[27:28], v[0:1], -v[6:7]
	v_add_f64_e64 v[0:1], v[2:3], -v[8:9]
	s_wait_loadcnt 0x2
	s_delay_alu instid0(VALU_DEP_2) | instskip(NEXT) | instid1(VALU_DEP_2)
	v_fma_f64 v[2:3], v[27:28], v[21:22], v[23:24]
	v_fma_f64 v[6:7], v[25:26], v[21:22], v[0:1]
	v_fma_f64 v[8:9], -v[27:28], v[21:22], v[23:24]
	v_fma_f64 v[21:22], v[25:26], v[21:22], -v[0:1]
	s_delay_alu instid0(VALU_DEP_4) | instskip(NEXT) | instid1(VALU_DEP_4)
	v_fma_f64 v[0:1], -v[25:26], v[19:20], v[2:3]
	v_fma_f64 v[2:3], v[27:28], v[19:20], v[6:7]
	s_delay_alu instid0(VALU_DEP_4) | instskip(NEXT) | instid1(VALU_DEP_4)
	v_fma_f64 v[6:7], v[25:26], v[19:20], v[8:9]
	v_fma_f64 v[8:9], v[27:28], v[19:20], v[21:22]
	ds_store_b128 v124, v[0:3] offset:5376
	ds_store_b128 v10, v[6:9] offset:17024
	ds_load_b128 v[0:3], v124 offset:6272
	ds_load_b128 v[6:9], v10 offset:16128
	global_load_b128 v[19:22], v[4:5], off offset:8064
	s_wait_dscnt 0x0
	v_add_f64_e32 v[23:24], v[0:1], v[6:7]
	v_add_f64_e32 v[25:26], v[8:9], v[2:3]
	v_add_f64_e64 v[27:28], v[0:1], -v[6:7]
	v_add_f64_e64 v[0:1], v[2:3], -v[8:9]
	s_wait_loadcnt 0x2
	s_delay_alu instid0(VALU_DEP_2) | instskip(NEXT) | instid1(VALU_DEP_2)
	v_fma_f64 v[2:3], v[27:28], v[17:18], v[23:24]
	v_fma_f64 v[6:7], v[25:26], v[17:18], v[0:1]
	v_fma_f64 v[8:9], -v[27:28], v[17:18], v[23:24]
	v_fma_f64 v[17:18], v[25:26], v[17:18], -v[0:1]
	s_delay_alu instid0(VALU_DEP_4) | instskip(NEXT) | instid1(VALU_DEP_4)
	v_fma_f64 v[0:1], -v[25:26], v[15:16], v[2:3]
	v_fma_f64 v[2:3], v[27:28], v[15:16], v[6:7]
	s_delay_alu instid0(VALU_DEP_4) | instskip(NEXT) | instid1(VALU_DEP_4)
	v_fma_f64 v[6:7], v[25:26], v[15:16], v[8:9]
	v_fma_f64 v[8:9], v[27:28], v[15:16], v[17:18]
	ds_store_b128 v124, v[0:3] offset:6272
	ds_store_b128 v10, v[6:9] offset:16128
	ds_load_b128 v[0:3], v124 offset:7168
	ds_load_b128 v[6:9], v10 offset:15232
	global_load_b128 v[15:18], v[4:5], off offset:8960
	s_wait_dscnt 0x0
	v_add_f64_e32 v[23:24], v[0:1], v[6:7]
	v_add_f64_e32 v[25:26], v[8:9], v[2:3]
	v_add_f64_e64 v[27:28], v[0:1], -v[6:7]
	v_add_f64_e64 v[0:1], v[2:3], -v[8:9]
	s_wait_loadcnt 0x2
	s_delay_alu instid0(VALU_DEP_2) | instskip(NEXT) | instid1(VALU_DEP_2)
	v_fma_f64 v[2:3], v[27:28], v[13:14], v[23:24]
	v_fma_f64 v[6:7], v[25:26], v[13:14], v[0:1]
	v_fma_f64 v[8:9], -v[27:28], v[13:14], v[23:24]
	v_fma_f64 v[13:14], v[25:26], v[13:14], -v[0:1]
	s_delay_alu instid0(VALU_DEP_4) | instskip(NEXT) | instid1(VALU_DEP_4)
	v_fma_f64 v[0:1], -v[25:26], v[11:12], v[2:3]
	v_fma_f64 v[2:3], v[27:28], v[11:12], v[6:7]
	s_delay_alu instid0(VALU_DEP_4) | instskip(NEXT) | instid1(VALU_DEP_4)
	v_fma_f64 v[6:7], v[25:26], v[11:12], v[8:9]
	v_fma_f64 v[8:9], v[27:28], v[11:12], v[13:14]
	ds_store_b128 v124, v[0:3] offset:7168
	ds_store_b128 v10, v[6:9] offset:15232
	ds_load_b128 v[0:3], v124 offset:8064
	ds_load_b128 v[6:9], v10 offset:14336
	global_load_b128 v[11:14], v[4:5], off offset:9856
	s_wait_dscnt 0x0
	v_add_f64_e32 v[23:24], v[0:1], v[6:7]
	v_add_f64_e32 v[25:26], v[8:9], v[2:3]
	v_add_f64_e64 v[27:28], v[0:1], -v[6:7]
	v_add_f64_e64 v[0:1], v[2:3], -v[8:9]
	s_wait_loadcnt 0x2
	s_delay_alu instid0(VALU_DEP_2) | instskip(NEXT) | instid1(VALU_DEP_2)
	v_fma_f64 v[2:3], v[27:28], v[21:22], v[23:24]
	v_fma_f64 v[6:7], v[25:26], v[21:22], v[0:1]
	v_fma_f64 v[8:9], -v[27:28], v[21:22], v[23:24]
	v_fma_f64 v[21:22], v[25:26], v[21:22], -v[0:1]
	s_delay_alu instid0(VALU_DEP_4) | instskip(NEXT) | instid1(VALU_DEP_4)
	v_fma_f64 v[0:1], -v[25:26], v[19:20], v[2:3]
	v_fma_f64 v[2:3], v[27:28], v[19:20], v[6:7]
	s_delay_alu instid0(VALU_DEP_4) | instskip(NEXT) | instid1(VALU_DEP_4)
	v_fma_f64 v[6:7], v[25:26], v[19:20], v[8:9]
	v_fma_f64 v[8:9], v[27:28], v[19:20], v[21:22]
	ds_store_b128 v124, v[0:3] offset:8064
	ds_store_b128 v10, v[6:9] offset:14336
	ds_load_b128 v[0:3], v124 offset:8960
	ds_load_b128 v[6:9], v10 offset:13440
	s_wait_dscnt 0x0
	v_add_f64_e32 v[19:20], v[0:1], v[6:7]
	v_add_f64_e32 v[21:22], v[8:9], v[2:3]
	v_add_f64_e64 v[23:24], v[0:1], -v[6:7]
	v_add_f64_e64 v[0:1], v[2:3], -v[8:9]
	s_wait_loadcnt 0x1
	s_delay_alu instid0(VALU_DEP_2) | instskip(NEXT) | instid1(VALU_DEP_2)
	v_fma_f64 v[2:3], v[23:24], v[17:18], v[19:20]
	v_fma_f64 v[6:7], v[21:22], v[17:18], v[0:1]
	v_fma_f64 v[8:9], -v[23:24], v[17:18], v[19:20]
	v_fma_f64 v[17:18], v[21:22], v[17:18], -v[0:1]
	s_delay_alu instid0(VALU_DEP_4) | instskip(NEXT) | instid1(VALU_DEP_4)
	v_fma_f64 v[0:1], -v[21:22], v[15:16], v[2:3]
	v_fma_f64 v[2:3], v[23:24], v[15:16], v[6:7]
	s_delay_alu instid0(VALU_DEP_4) | instskip(NEXT) | instid1(VALU_DEP_4)
	v_fma_f64 v[6:7], v[21:22], v[15:16], v[8:9]
	v_fma_f64 v[8:9], v[23:24], v[15:16], v[17:18]
	ds_store_b128 v124, v[0:3] offset:8960
	ds_store_b128 v10, v[6:9] offset:13440
	ds_load_b128 v[0:3], v124 offset:9856
	ds_load_b128 v[6:9], v10 offset:12544
	s_wait_dscnt 0x0
	v_add_f64_e32 v[15:16], v[0:1], v[6:7]
	v_add_f64_e32 v[17:18], v[8:9], v[2:3]
	v_add_f64_e64 v[19:20], v[0:1], -v[6:7]
	v_add_f64_e64 v[0:1], v[2:3], -v[8:9]
	s_wait_loadcnt 0x0
	s_delay_alu instid0(VALU_DEP_2) | instskip(NEXT) | instid1(VALU_DEP_2)
	v_fma_f64 v[2:3], v[19:20], v[13:14], v[15:16]
	v_fma_f64 v[6:7], v[17:18], v[13:14], v[0:1]
	v_fma_f64 v[8:9], -v[19:20], v[13:14], v[15:16]
	v_fma_f64 v[13:14], v[17:18], v[13:14], -v[0:1]
	s_delay_alu instid0(VALU_DEP_4) | instskip(NEXT) | instid1(VALU_DEP_4)
	v_fma_f64 v[0:1], -v[17:18], v[11:12], v[2:3]
	v_fma_f64 v[2:3], v[19:20], v[11:12], v[6:7]
	s_delay_alu instid0(VALU_DEP_4) | instskip(NEXT) | instid1(VALU_DEP_4)
	v_fma_f64 v[6:7], v[17:18], v[11:12], v[8:9]
	v_fma_f64 v[8:9], v[19:20], v[11:12], v[13:14]
	ds_store_b128 v124, v[0:3] offset:9856
	ds_store_b128 v10, v[6:9] offset:12544
	s_and_saveexec_b32 s1, s0
	s_cbranch_execz .LBB0_19
; %bb.18:
	global_load_b128 v[0:3], v[4:5], off offset:10752
	ds_load_b128 v[4:7], v124 offset:10752
	ds_load_b128 v[11:14], v10 offset:11648
	s_wait_dscnt 0x0
	v_add_f64_e32 v[8:9], v[4:5], v[11:12]
	v_add_f64_e32 v[15:16], v[13:14], v[6:7]
	v_add_f64_e64 v[11:12], v[4:5], -v[11:12]
	v_add_f64_e64 v[4:5], v[6:7], -v[13:14]
	s_wait_loadcnt 0x0
	s_delay_alu instid0(VALU_DEP_2) | instskip(NEXT) | instid1(VALU_DEP_2)
	v_fma_f64 v[6:7], v[11:12], v[2:3], v[8:9]
	v_fma_f64 v[13:14], v[15:16], v[2:3], v[4:5]
	v_fma_f64 v[8:9], -v[11:12], v[2:3], v[8:9]
	v_fma_f64 v[17:18], v[15:16], v[2:3], -v[4:5]
	s_delay_alu instid0(VALU_DEP_4) | instskip(NEXT) | instid1(VALU_DEP_4)
	v_fma_f64 v[2:3], -v[15:16], v[0:1], v[6:7]
	v_fma_f64 v[4:5], v[11:12], v[0:1], v[13:14]
	s_delay_alu instid0(VALU_DEP_4) | instskip(NEXT) | instid1(VALU_DEP_4)
	v_fma_f64 v[6:7], v[15:16], v[0:1], v[8:9]
	v_fma_f64 v[8:9], v[11:12], v[0:1], v[17:18]
	ds_store_b128 v124, v[2:5] offset:10752
	ds_store_b128 v10, v[6:9] offset:11648
.LBB0_19:
	s_wait_alu 0xfffe
	s_or_b32 exec_lo, exec_lo, s1
	global_wb scope:SCOPE_SE
	s_wait_dscnt 0x0
	s_barrier_signal -1
	s_barrier_wait -1
	global_inv scope:SCOPE_SE
	global_wb scope:SCOPE_SE
	s_barrier_signal -1
	s_barrier_wait -1
	global_inv scope:SCOPE_SE
	ds_load_b128 v[0:3], v124 offset:11200
	ds_load_b128 v[4:7], v124
	ds_load_b128 v[8:11], v124 offset:896
	ds_load_b128 v[12:15], v124 offset:12096
	;; [unrolled: 1-line block ×24, first 2 shown]
	v_add_nc_u32_e32 v127, 56, v120
	global_wb scope:SCOPE_SE
	s_wait_dscnt 0x0
	s_barrier_signal -1
	s_barrier_wait -1
	global_inv scope:SCOPE_SE
	v_add_nc_u32_e32 v126, 0x70, v120
	v_add_nc_u32_e32 v125, 0xa8, v120
	v_add_f64_e64 v[0:1], v[4:5], -v[0:1]
	v_add_f64_e64 v[2:3], v[6:7], -v[2:3]
	;; [unrolled: 1-line block ×6, first 2 shown]
	v_add_nc_u32_e32 v121, 0xe0, v120
	v_add_f64_e64 v[32:33], v[28:29], -v[32:33]
	v_add_f64_e64 v[34:35], v[30:31], -v[34:35]
	;; [unrolled: 1-line block ×20, first 2 shown]
	v_lshl_add_u32 v100, v120, 5, 0
	v_lshl_add_u32 v101, v127, 5, 0
	v_lshl_add_u32 v102, v126, 5, 0
	v_add_nc_u32_e32 v104, 0x118, v120
	v_add_nc_u32_e32 v106, 0x188, v120
	;; [unrolled: 1-line block ×3, first 2 shown]
	v_or_b32_e32 v107, 0x1c0, v120
	v_add_nc_u32_e32 v117, 0x1f8, v120
	v_add_nc_u32_e32 v118, 0x230, v120
	;; [unrolled: 1-line block ×4, first 2 shown]
	v_fma_f64 v[4:5], v[4:5], 2.0, -v[0:1]
	v_fma_f64 v[6:7], v[6:7], 2.0, -v[2:3]
	;; [unrolled: 1-line block ×6, first 2 shown]
	ds_store_b128 v100, v[4:7]
	ds_store_b128 v100, v[0:3] offset:16
	ds_store_b128 v101, v[8:11]
	ds_store_b128 v101, v[12:15] offset:16
	v_fma_f64 v[28:29], v[28:29], 2.0, -v[32:33]
	v_fma_f64 v[30:31], v[30:31], 2.0, -v[34:35]
	;; [unrolled: 1-line block ×20, first 2 shown]
	v_lshl_add_u32 v4, v125, 5, 0
	v_lshl_add_u32 v5, v121, 5, 0
	ds_store_b128 v102, v[20:23]
	ds_store_b128 v102, v[16:19] offset:16
	ds_store_b128 v4, v[28:31]
	ds_store_b128 v4, v[32:35] offset:16
	v_lshl_add_u32 v4, v104, 5, 0
	ds_store_b128 v5, v[40:43]
	ds_store_b128 v5, v[36:39] offset:16
	v_lshl_add_u32 v5, v106, 5, 0
	v_lshl_add_u32 v6, v105, 5, 0
	ds_store_b128 v4, v[44:47]
	ds_store_b128 v4, v[48:51] offset:16
	ds_store_b128 v6, v[56:59]
	ds_store_b128 v6, v[108:111] offset:16
	v_lshl_add_u32 v4, v107, 5, 0
	ds_store_b128 v5, v[60:63]
	ds_store_b128 v5, v[64:67] offset:16
	v_lshl_add_u32 v5, v117, 5, 0
	v_lshl_add_u32 v6, v118, 5, 0
	ds_store_b128 v4, v[72:75]
	ds_store_b128 v4, v[68:71] offset:16
	v_lshl_add_u32 v4, v119, 5, 0
	ds_store_b128 v5, v[76:79]
	ds_store_b128 v5, v[80:83] offset:16
	ds_store_b128 v6, v[88:91]
	ds_store_b128 v6, v[84:87] offset:16
	;; [unrolled: 2-line block ×3, first 2 shown]
	s_and_saveexec_b32 s1, s0
	s_cbranch_execz .LBB0_21
; %bb.20:
	v_lshl_add_u32 v4, v116, 5, 0
	ds_store_b128 v4, v[0:3]
	ds_store_b128 v4, v[52:55] offset:16
.LBB0_21:
	s_wait_alu 0xfffe
	s_or_b32 exec_lo, exec_lo, s1
	global_wb scope:SCOPE_SE
	s_wait_dscnt 0x0
	s_barrier_signal -1
	s_barrier_wait -1
	global_inv scope:SCOPE_SE
	ds_load_b128 v[4:7], v124
	ds_load_b128 v[8:11], v124 offset:896
	ds_load_b128 v[60:63], v124 offset:11200
	;; [unrolled: 1-line block ×23, first 2 shown]
	v_lshlrev_b32_e32 v115, 1, v120
	v_lshlrev_b32_e32 v114, 1, v127
	;; [unrolled: 1-line block ×12, first 2 shown]
	s_and_saveexec_b32 s1, s0
	s_cbranch_execz .LBB0_23
; %bb.22:
	ds_load_b128 v[0:3], v124 offset:10752
	ds_load_b128 v[52:55], v124 offset:21952
.LBB0_23:
	s_wait_alu 0xfffe
	s_or_b32 exec_lo, exec_lo, s1
	v_and_b32_e32 v117, 1, v120
	v_lshlrev_b32_e32 v116, 1, v116
	s_delay_alu instid0(VALU_DEP_2)
	v_lshlrev_b32_e32 v118, 4, v117
	global_load_b128 v[128:131], v118, s[4:5]
	global_wb scope:SCOPE_SE
	s_wait_loadcnt_dscnt 0x0
	s_barrier_signal -1
	s_barrier_wait -1
	global_inv scope:SCOPE_SE
	v_mul_f64_e32 v[118:119], v[62:63], v[130:131]
	v_mul_f64_e32 v[132:133], v[60:61], v[130:131]
	;; [unrolled: 1-line block ×26, first 2 shown]
	v_fma_f64 v[60:61], v[60:61], v[128:129], -v[118:119]
	v_fma_f64 v[62:63], v[62:63], v[128:129], v[132:133]
	v_fma_f64 v[118:119], v[56:57], v[128:129], -v[134:135]
	v_fma_f64 v[132:133], v[58:59], v[128:129], v[136:137]
	;; [unrolled: 2-line block ×13, first 2 shown]
	v_and_or_b32 v154, 0x7c, v115, v117
	v_and_or_b32 v155, 0xfc, v114, v117
	;; [unrolled: 1-line block ×3, first 2 shown]
	v_add_f64_e64 v[56:57], v[4:5], -v[60:61]
	v_add_f64_e64 v[58:59], v[6:7], -v[62:63]
	;; [unrolled: 1-line block ×26, first 2 shown]
	v_and_or_b32 v118, 0x1fc, v112, v117
	v_and_or_b32 v119, 0x3fc, v111, v117
	;; [unrolled: 1-line block ×9, first 2 shown]
	v_fma_f64 v[128:129], v[4:5], 2.0, -v[56:57]
	v_fma_f64 v[130:131], v[6:7], 2.0, -v[58:59]
	;; [unrolled: 1-line block ×26, first 2 shown]
	v_lshl_add_u32 v0, v154, 4, 0
	v_lshl_add_u32 v1, v155, 4, 0
	v_lshl_add_u32 v2, v156, 4, 0
	v_lshl_add_u32 v3, v118, 4, 0
	v_lshl_add_u32 v118, v119, 4, 0
	v_lshl_add_u32 v119, v132, 4, 0
	v_lshl_add_u32 v132, v133, 4, 0
	v_lshl_add_u32 v133, v134, 4, 0
	v_lshl_add_u32 v134, v135, 4, 0
	v_lshl_add_u32 v135, v136, 4, 0
	v_lshl_add_u32 v136, v137, 4, 0
	v_lshl_add_u32 v137, v138, 4, 0
	ds_store_b128 v0, v[128:131]
	ds_store_b128 v0, v[56:59] offset:32
	ds_store_b128 v1, v[8:11]
	ds_store_b128 v1, v[60:63] offset:32
	;; [unrolled: 2-line block ×12, first 2 shown]
	s_and_saveexec_b32 s1, s0
	s_cbranch_execz .LBB0_25
; %bb.24:
	v_and_or_b32 v0, 0x57c, v116, v117
	s_delay_alu instid0(VALU_DEP_1)
	v_lshl_add_u32 v0, v0, 4, 0
	ds_store_b128 v0, v[4:7]
	ds_store_b128 v0, v[52:55] offset:32
.LBB0_25:
	s_wait_alu 0xfffe
	s_or_b32 exec_lo, exec_lo, s1
	global_wb scope:SCOPE_SE
	s_wait_dscnt 0x0
	s_barrier_signal -1
	s_barrier_wait -1
	global_inv scope:SCOPE_SE
	ds_load_b128 v[0:3], v124
	ds_load_b128 v[8:11], v124 offset:896
	ds_load_b128 v[60:63], v124 offset:11200
	;; [unrolled: 1-line block ×23, first 2 shown]
	s_and_saveexec_b32 s1, s0
	s_cbranch_execz .LBB0_27
; %bb.26:
	ds_load_b128 v[4:7], v124 offset:10752
	ds_load_b128 v[52:55], v124 offset:21952
.LBB0_27:
	s_wait_alu 0xfffe
	s_or_b32 exec_lo, exec_lo, s1
	v_and_b32_e32 v117, 3, v120
	s_delay_alu instid0(VALU_DEP_1)
	v_lshlrev_b32_e32 v118, 4, v117
	v_and_or_b32 v115, 0x78, v115, v117
	v_and_or_b32 v112, 0x1f8, v112, v117
	;; [unrolled: 1-line block ×4, first 2 shown]
	global_load_b128 v[128:131], v118, s[4:5] offset:32
	v_and_or_b32 v109, 0x3f8, v109, v117
	v_and_or_b32 v108, 0x3f8, v108, v117
	;; [unrolled: 1-line block ×6, first 2 shown]
	global_wb scope:SCOPE_SE
	s_wait_loadcnt_dscnt 0x0
	s_barrier_signal -1
	s_barrier_wait -1
	global_inv scope:SCOPE_SE
	v_lshl_add_u32 v112, v112, 4, 0
	v_lshl_add_u32 v111, v111, 4, 0
	v_lshl_add_u32 v110, v110, 4, 0
	v_lshl_add_u32 v109, v109, 4, 0
	v_lshl_add_u32 v108, v108, 4, 0
	v_lshl_add_u32 v107, v107, 4, 0
	v_lshl_add_u32 v106, v106, 4, 0
	v_lshl_add_u32 v105, v105, 4, 0
	v_lshl_add_u32 v104, v104, 4, 0
	v_mul_f64_e32 v[118:119], v[62:63], v[130:131]
	v_mul_f64_e32 v[132:133], v[60:61], v[130:131]
	;; [unrolled: 1-line block ×24, first 2 shown]
	v_fma_f64 v[60:61], v[60:61], v[128:129], -v[118:119]
	v_fma_f64 v[62:63], v[62:63], v[128:129], v[132:133]
	v_fma_f64 v[118:119], v[56:57], v[128:129], -v[134:135]
	v_fma_f64 v[84:85], v[84:85], v[128:129], -v[154:155]
	v_mul_f64_e32 v[154:155], v[54:55], v[130:131]
	v_mul_f64_e32 v[130:131], v[52:53], v[130:131]
	v_fma_f64 v[132:133], v[58:59], v[128:129], v[136:137]
	v_fma_f64 v[68:69], v[68:69], v[128:129], -v[138:139]
	v_fma_f64 v[70:71], v[70:71], v[128:129], v[140:141]
	v_fma_f64 v[134:135], v[64:65], v[128:129], -v[142:143]
	;; [unrolled: 2-line block ×4, first 2 shown]
	v_fma_f64 v[140:141], v[74:75], v[128:129], v[152:153]
	v_fma_f64 v[86:87], v[86:87], v[128:129], v[156:157]
	v_fma_f64 v[142:143], v[80:81], v[128:129], -v[158:159]
	v_fma_f64 v[144:145], v[82:83], v[128:129], v[160:161]
	v_fma_f64 v[92:93], v[92:93], v[128:129], -v[162:163]
	;; [unrolled: 2-line block ×5, first 2 shown]
	v_fma_f64 v[152:153], v[98:99], v[128:129], v[176:177]
	v_and_or_b32 v156, 0xf8, v114, v117
	v_and_or_b32 v157, 0x1f8, v113, v117
	v_add_f64_e64 v[56:57], v[0:1], -v[60:61]
	v_add_f64_e64 v[58:59], v[2:3], -v[62:63]
	;; [unrolled: 1-line block ×4, first 2 shown]
	v_fma_f64 v[113:114], v[52:53], v[128:129], -v[154:155]
	v_fma_f64 v[118:119], v[54:55], v[128:129], v[130:131]
	v_add_f64_e64 v[62:63], v[10:11], -v[132:133]
	v_add_f64_e64 v[64:65], v[12:13], -v[68:69]
	;; [unrolled: 1-line block ×20, first 2 shown]
	v_fma_f64 v[52:53], v[0:1], 2.0, -v[56:57]
	v_fma_f64 v[54:55], v[2:3], 2.0, -v[58:59]
	v_fma_f64 v[8:9], v[8:9], 2.0, -v[60:61]
	v_fma_f64 v[28:29], v[28:29], 2.0, -v[80:81]
	v_add_f64_e64 v[0:1], v[4:5], -v[113:114]
	v_add_f64_e64 v[2:3], v[6:7], -v[118:119]
	v_fma_f64 v[10:11], v[10:11], 2.0, -v[62:63]
	v_fma_f64 v[12:13], v[12:13], 2.0, -v[64:65]
	;; [unrolled: 1-line block ×20, first 2 shown]
	v_lshl_add_u32 v113, v115, 4, 0
	v_lshl_add_u32 v114, v156, 4, 0
	;; [unrolled: 1-line block ×3, first 2 shown]
	ds_store_b128 v113, v[52:55]
	ds_store_b128 v113, v[56:59] offset:64
	ds_store_b128 v114, v[8:11]
	ds_store_b128 v114, v[60:63] offset:64
	;; [unrolled: 2-line block ×12, first 2 shown]
	s_and_saveexec_b32 s1, s0
	s_cbranch_execz .LBB0_29
; %bb.28:
	v_fma_f64 v[6:7], v[6:7], 2.0, -v[2:3]
	v_fma_f64 v[4:5], v[4:5], 2.0, -v[0:1]
	v_and_or_b32 v8, 0x578, v116, v117
	s_delay_alu instid0(VALU_DEP_1)
	v_lshl_add_u32 v8, v8, 4, 0
	ds_store_b128 v8, v[4:7]
	ds_store_b128 v8, v[0:3] offset:64
.LBB0_29:
	s_wait_alu 0xfffe
	s_or_b32 exec_lo, exec_lo, s1
	v_and_b32_e32 v128, 7, v120
	global_wb scope:SCOPE_SE
	s_wait_dscnt 0x0
	s_barrier_signal -1
	s_barrier_wait -1
	global_inv scope:SCOPE_SE
	v_lshlrev_b32_e32 v4, 6, v128
	v_lshrrev_b32_e32 v129, 3, v120
	v_lshrrev_b32_e32 v130, 3, v127
	;; [unrolled: 1-line block ×4, first 2 shown]
	s_clause 0x3
	global_load_b128 v[28:31], v4, s[4:5] offset:96
	global_load_b128 v[24:27], v4, s[4:5] offset:112
	;; [unrolled: 1-line block ×4, first 2 shown]
	ds_load_b128 v[32:35], v124 offset:4480
	ds_load_b128 v[4:7], v124 offset:3584
	ds_load_b128 v[12:15], v124
	ds_load_b128 v[8:11], v124 offset:896
	ds_load_b128 v[104:107], v124 offset:8960
	;; [unrolled: 1-line block ×22, first 2 shown]
	v_lshrrev_b32_e32 v133, 3, v121
	v_mul_u32_u24_e32 v239, 40, v129
	v_mul_u32_u24_e32 v240, 40, v130
	;; [unrolled: 1-line block ×5, first 2 shown]
	s_mov_b32 s10, 0x134454ff
	s_mov_b32 s11, 0x3fee6f0e
	;; [unrolled: 1-line block ×7, first 2 shown]
	s_wait_alu 0xfffe
	s_mov_b32 s6, s2
	s_mov_b32 s0, 0x372fe950
	;; [unrolled: 1-line block ×3, first 2 shown]
	global_wb scope:SCOPE_SE
	s_wait_loadcnt_dscnt 0x0
	s_barrier_signal -1
	s_barrier_wait -1
	global_inv scope:SCOPE_SE
	v_mul_f64_e32 v[129:130], v[34:35], v[30:31]
	v_mul_f64_e32 v[131:132], v[32:33], v[30:31]
	;; [unrolled: 1-line block ×40, first 2 shown]
	v_fma_f64 v[32:33], v[32:33], v[28:29], -v[129:130]
	v_fma_f64 v[34:35], v[34:35], v[28:29], v[131:132]
	v_fma_f64 v[104:105], v[104:105], v[24:25], -v[133:134]
	v_fma_f64 v[106:107], v[106:107], v[24:25], v[135:136]
	;; [unrolled: 2-line block ×3, first 2 shown]
	v_fma_f64 v[96:97], v[96:97], v[16:17], -v[141:142]
	v_fma_f64 v[100:101], v[100:101], v[28:29], -v[145:146]
	v_fma_f64 v[102:103], v[102:103], v[28:29], v[147:148]
	v_fma_f64 v[80:81], v[80:81], v[24:25], -v[149:150]
	v_fma_f64 v[82:83], v[82:83], v[24:25], v[151:152]
	;; [unrolled: 2-line block ×4, first 2 shown]
	v_fma_f64 v[98:99], v[98:99], v[16:17], v[143:144]
	v_fma_f64 v[72:73], v[72:73], v[28:29], -v[161:162]
	v_fma_f64 v[74:75], v[74:75], v[28:29], v[163:164]
	v_fma_f64 v[76:77], v[76:77], v[24:25], -v[165:166]
	;; [unrolled: 2-line block ×10, first 2 shown]
	v_fma_f64 v[64:65], v[64:65], v[16:17], -v[173:174]
	v_fma_f64 v[66:67], v[66:67], v[16:17], v[175:176]
	v_fma_f64 v[36:37], v[36:37], v[16:17], -v[189:190]
	v_fma_f64 v[38:39], v[38:39], v[16:17], v[191:192]
	v_fma_f64 v[16:17], v[46:47], v[16:17], v[18:19]
	v_add_f64_e32 v[18:19], v[12:13], v[32:33]
	v_add_f64_e32 v[22:23], v[14:15], v[34:35]
	;; [unrolled: 1-line block ×3, first 2 shown]
	v_add_f64_e64 v[58:59], v[32:33], -v[104:105]
	v_add_f64_e64 v[60:61], v[96:97], -v[108:109]
	v_add_f64_e32 v[62:63], v[32:33], v[96:97]
	v_add_f64_e32 v[133:134], v[106:107], v[110:111]
	;; [unrolled: 1-line block ×10, first 2 shown]
	v_add_f64_e64 v[54:55], v[34:35], -v[98:99]
	v_add_f64_e64 v[139:140], v[34:35], -v[106:107]
	;; [unrolled: 1-line block ×4, first 2 shown]
	v_add_f64_e32 v[153:154], v[76:77], v[48:49]
	v_add_f64_e32 v[157:158], v[78:79], v[50:51]
	;; [unrolled: 1-line block ×3, first 2 shown]
	v_add_f64_e64 v[129:130], v[104:105], -v[32:33]
	v_add_f64_e64 v[131:132], v[108:109], -v[96:97]
	v_add_f64_e32 v[169:170], v[40:41], v[92:93]
	v_add_f64_e32 v[173:174], v[42:43], v[94:95]
	v_add_f64_e64 v[141:142], v[98:99], -v[110:111]
	v_add_f64_e32 v[215:216], v[112:113], v[88:89]
	v_add_f64_e32 v[217:218], v[114:115], v[90:91]
	v_add_f64_e64 v[56:57], v[106:107], -v[110:111]
	v_add_f64_e32 v[181:182], v[30:31], v[26:27]
	v_add_f64_e32 v[185:186], v[24:25], v[20:21]
	v_add_f64_e32 v[183:184], v[52:53], v[44:45]
	v_add_f64_e32 v[155:156], v[72:73], v[64:65]
	;; [unrolled: 1-line block ×6, first 2 shown]
	v_add_f64_e64 v[32:33], v[32:33], -v[96:97]
	v_add_f64_e64 v[135:136], v[104:105], -v[108:109]
	;; [unrolled: 1-line block ×6, first 2 shown]
	v_add_f64_e32 v[221:222], v[6:7], v[28:29]
	v_fma_f64 v[46:47], v[46:47], -0.5, v[12:13]
	v_fma_f64 v[12:13], v[62:63], -0.5, v[12:13]
	;; [unrolled: 1-line block ×7, first 2 shown]
	v_add_f64_e64 v[149:150], v[80:81], -v[84:85]
	v_add_f64_e32 v[18:19], v[18:19], v[104:105]
	v_add_f64_e64 v[104:105], v[24:25], -v[28:29]
	v_add_f64_e32 v[22:23], v[22:23], v[106:107]
	;; [unrolled: 2-line block ×4, first 2 shown]
	v_add_f64_e32 v[82:83], v[179:180], v[82:83]
	v_fma_f64 v[14:15], v[137:138], -0.5, v[14:15]
	v_add_f64_e32 v[219:220], v[4:5], v[52:53]
	v_add_f64_e64 v[102:103], v[102:103], -v[70:71]
	v_add_f64_e64 v[100:101], v[100:101], -v[68:69]
	;; [unrolled: 1-line block ×5, first 2 shown]
	v_fma_f64 v[181:182], v[181:182], -0.5, v[4:5]
	v_fma_f64 v[153:154], v[153:154], -0.5, v[116:117]
	;; [unrolled: 1-line block ×4, first 2 shown]
	v_add_f64_e64 v[185:186], v[28:29], -v[24:25]
	v_add_f64_e32 v[28:29], v[197:198], v[76:77]
	v_fma_f64 v[116:117], v[155:156], -0.5, v[116:117]
	v_fma_f64 v[155:156], v[157:158], -0.5, v[118:119]
	;; [unrolled: 1-line block ×3, first 2 shown]
	v_add_f64_e64 v[157:158], v[52:53], -v[30:31]
	v_add_f64_e64 v[159:160], v[44:45], -v[26:27]
	v_fma_f64 v[169:170], v[169:170], -0.5, v[112:113]
	v_fma_f64 v[112:113], v[171:172], -0.5, v[112:113]
	;; [unrolled: 1-line block ×4, first 2 shown]
	v_add_f64_e64 v[173:174], v[30:31], -v[52:53]
	v_add_f64_e64 v[175:176], v[26:27], -v[44:45]
	v_add_f64_e32 v[151:152], v[34:35], v[151:152]
	v_add_f64_e32 v[34:35], v[207:208], v[78:79]
	v_add_f64_e64 v[199:200], v[72:73], -v[76:77]
	v_add_f64_e64 v[203:204], v[76:77], -v[72:73]
	;; [unrolled: 1-line block ×7, first 2 shown]
	v_fma_f64 v[6:7], v[187:188], -0.5, v[6:7]
	v_add_f64_e64 v[187:188], v[16:17], -v[20:21]
	v_add_f64_e64 v[74:75], v[74:75], -v[66:67]
	;; [unrolled: 1-line block ×4, first 2 shown]
	v_add_f64_e32 v[129:130], v[129:130], v[131:132]
	v_add_f64_e64 v[131:132], v[42:43], -v[94:95]
	v_add_f64_e32 v[139:140], v[139:140], v[141:142]
	v_add_f64_e64 v[141:142], v[40:41], -v[92:93]
	v_add_f64_e32 v[40:41], v[215:216], v[40:41]
	v_add_f64_e32 v[42:43], v[217:218], v[42:43]
	v_add_f64_e64 v[165:166], v[68:69], -v[84:85]
	v_add_f64_e64 v[177:178], v[84:85], -v[68:69]
	;; [unrolled: 1-line block ×14, first 2 shown]
	v_add_f64_e32 v[24:25], v[221:222], v[24:25]
	v_add_f64_e32 v[104:105], v[104:105], v[106:107]
	;; [unrolled: 1-line block ×5, first 2 shown]
	v_fma_f64 v[84:85], v[54:55], s[10:11], v[46:47]
	v_fma_f64 v[46:47], v[54:55], s[12:13], v[46:47]
	;; [unrolled: 1-line block ×7, first 2 shown]
	v_add_f64_e32 v[30:31], v[219:220], v[30:31]
	v_fma_f64 v[62:63], v[32:33], s[10:11], v[62:63]
	v_add_f64_e32 v[22:23], v[22:23], v[110:111]
	v_fma_f64 v[110:111], v[102:103], s[10:11], v[143:144]
	;; [unrolled: 2-line block ×3, first 2 shown]
	v_add_f64_e32 v[137:138], v[137:138], v[147:148]
	v_add_f64_e32 v[147:148], v[157:158], v[159:160]
	v_add_f64_e32 v[157:158], v[173:174], v[175:176]
	v_fma_f64 v[173:174], v[60:61], s[12:13], v[8:9]
	v_add_f64_e32 v[34:35], v[34:35], v[50:51]
	v_fma_f64 v[50:51], v[149:150], s[10:11], v[10:11]
	v_fma_f64 v[8:9], v[60:61], s[10:11], v[8:9]
	;; [unrolled: 1-line block ×5, first 2 shown]
	v_add_f64_e64 v[227:228], v[36:37], -v[92:93]
	v_add_f64_e64 v[231:232], v[92:93], -v[36:37]
	v_add_f64_e64 v[133:134], v[38:39], -v[94:95]
	v_add_f64_e32 v[159:160], v[185:186], v[187:188]
	v_add_f64_e32 v[40:41], v[40:41], v[92:93]
	v_fma_f64 v[92:93], v[74:75], s[10:11], v[153:154]
	v_add_f64_e32 v[42:43], v[42:43], v[94:95]
	v_fma_f64 v[94:95], v[161:162], s[12:13], v[116:117]
	v_fma_f64 v[116:117], v[161:162], s[10:11], v[116:117]
	v_fma_f64 v[185:186], v[72:73], s[12:13], v[155:156]
	v_add_f64_e32 v[163:164], v[163:164], v[165:166]
	v_add_f64_e32 v[165:166], v[167:168], v[177:178]
	;; [unrolled: 1-line block ×3, first 2 shown]
	v_fma_f64 v[199:200], v[179:180], s[10:11], v[118:119]
	v_fma_f64 v[118:119], v[179:180], s[12:13], v[118:119]
	;; [unrolled: 1-line block ×4, first 2 shown]
	v_add_f64_e32 v[78:79], v[189:190], v[191:192]
	v_add_f64_e32 v[189:190], v[203:204], v[205:206]
	v_fma_f64 v[201:202], v[90:91], s[10:11], v[169:170]
	v_fma_f64 v[203:204], v[131:132], s[12:13], v[112:113]
	;; [unrolled: 1-line block ×8, first 2 shown]
	v_add_f64_e32 v[167:168], v[193:194], v[195:196]
	v_add_f64_e32 v[191:192], v[209:210], v[211:212]
	;; [unrolled: 1-line block ×3, first 2 shown]
	v_fma_f64 v[209:210], v[235:236], s[10:11], v[181:182]
	v_fma_f64 v[213:214], v[52:53], s[12:13], v[183:184]
	;; [unrolled: 1-line block ×8, first 2 shown]
	v_add_f64_e32 v[187:188], v[24:25], v[20:21]
	v_add_f64_e32 v[20:21], v[18:19], v[96:97]
	v_fma_f64 v[18:19], v[56:57], s[2:3], v[84:85]
	s_wait_alu 0xfffe
	v_fma_f64 v[46:47], v[56:57], s[6:7], v[46:47]
	v_fma_f64 v[56:57], v[54:55], s[2:3], v[86:87]
	;; [unrolled: 1-line block ×4, first 2 shown]
	v_add_f64_e32 v[24:25], v[80:81], v[68:69]
	v_fma_f64 v[68:69], v[32:33], s[6:7], v[108:109]
	v_fma_f64 v[14:15], v[32:33], s[2:3], v[14:15]
	v_add_f64_e32 v[175:176], v[30:31], v[26:27]
	v_fma_f64 v[62:63], v[135:136], s[2:3], v[62:63]
	v_add_f64_e32 v[26:27], v[82:83], v[70:71]
	v_fma_f64 v[70:71], v[60:61], s[2:3], v[110:111]
	v_fma_f64 v[82:83], v[149:150], s[6:7], v[48:49]
	;; [unrolled: 1-line block ×8, first 2 shown]
	v_add_f64_e32 v[22:23], v[22:23], v[98:99]
	v_fma_f64 v[92:93], v[161:162], s[2:3], v[92:93]
	v_fma_f64 v[94:95], v[74:75], s[2:3], v[94:95]
	;; [unrolled: 1-line block ×8, first 2 shown]
	v_add_f64_e32 v[195:196], v[225:226], v[227:228]
	v_add_f64_e32 v[197:198], v[229:230], v[231:232]
	;; [unrolled: 1-line block ×3, first 2 shown]
	v_fma_f64 v[108:109], v[131:132], s[2:3], v[201:202]
	v_fma_f64 v[116:117], v[90:91], s[2:3], v[203:204]
	;; [unrolled: 1-line block ×16, first 2 shown]
	v_add_f64_e32 v[30:31], v[34:35], v[66:67]
	v_add_f64_e32 v[32:33], v[40:41], v[36:37]
	;; [unrolled: 1-line block ×3, first 2 shown]
	v_fma_f64 v[40:41], v[58:59], s[0:1], v[18:19]
	v_fma_f64 v[42:43], v[139:140], s[0:1], v[54:55]
	v_fma_f64 v[48:49], v[129:130], s[0:1], v[56:57]
	v_fma_f64 v[50:51], v[151:152], s[0:1], v[68:69]
	v_fma_f64 v[52:53], v[129:130], s[0:1], v[12:13]
	v_fma_f64 v[54:55], v[151:152], s[0:1], v[14:15]
	v_add_f64_e32 v[36:37], v[175:176], v[44:45]
	v_fma_f64 v[44:45], v[58:59], s[0:1], v[46:47]
	v_fma_f64 v[46:47], v[139:140], s[0:1], v[62:63]
	;; [unrolled: 1-line block ×4, first 2 shown]
	v_add_f64_e32 v[28:29], v[28:29], v[64:65]
	v_fma_f64 v[64:65], v[165:166], s[0:1], v[80:81]
	v_fma_f64 v[66:67], v[167:168], s[0:1], v[86:87]
	v_fma_f64 v[68:69], v[165:166], s[0:1], v[8:9]
	v_fma_f64 v[70:71], v[167:168], s[0:1], v[10:11]
	v_fma_f64 v[60:61], v[163:164], s[0:1], v[60:61]
	v_fma_f64 v[62:63], v[78:79], s[0:1], v[84:85]
	v_fma_f64 v[72:73], v[177:178], s[0:1], v[92:93]
	v_fma_f64 v[84:85], v[189:190], s[0:1], v[74:75]
	v_fma_f64 v[74:75], v[191:192], s[0:1], v[98:99]
	v_fma_f64 v[80:81], v[189:190], s[0:1], v[94:95]
	v_fma_f64 v[82:83], v[193:194], s[0:1], v[102:103]
	v_fma_f64 v[86:87], v[193:194], s[0:1], v[106:107]
	v_fma_f64 v[76:77], v[177:178], s[0:1], v[96:97]
	v_fma_f64 v[78:79], v[191:192], s[0:1], v[100:101]
	v_fma_f64 v[88:89], v[195:196], s[0:1], v[108:109]
	v_fma_f64 v[100:101], v[197:198], s[0:1], v[90:91]
	v_fma_f64 v[90:91], v[133:134], s[0:1], v[112:113]
	v_fma_f64 v[96:97], v[197:198], s[0:1], v[116:117]
	v_fma_f64 v[98:99], v[137:138], s[0:1], v[131:132]
	v_fma_f64 v[102:103], v[137:138], s[0:1], v[114:115]
	v_fma_f64 v[92:93], v[195:196], s[0:1], v[110:111]
	v_fma_f64 v[94:95], v[133:134], s[0:1], v[118:119]
	v_add_f64_e32 v[38:39], v[187:188], v[16:17]
	v_fma_f64 v[4:5], v[147:148], s[0:1], v[135:136]
	v_fma_f64 v[6:7], v[159:160], s[0:1], v[149:150]
	;; [unrolled: 1-line block ×8, first 2 shown]
	v_or_b32_e32 v104, v239, v128
	v_or_b32_e32 v105, v240, v128
	;; [unrolled: 1-line block ×5, first 2 shown]
	v_lshl_add_u32 v104, v104, 4, 0
	v_lshl_add_u32 v105, v105, 4, 0
	;; [unrolled: 1-line block ×5, first 2 shown]
	ds_store_b128 v104, v[20:23]
	ds_store_b128 v104, v[40:43] offset:128
	ds_store_b128 v104, v[48:51] offset:256
	ds_store_b128 v104, v[52:55] offset:384
	ds_store_b128 v104, v[44:47] offset:512
	ds_store_b128 v105, v[24:27]
	ds_store_b128 v105, v[56:59] offset:128
	ds_store_b128 v105, v[64:67] offset:256
	ds_store_b128 v105, v[68:71] offset:384
	ds_store_b128 v105, v[60:63] offset:512
	;; [unrolled: 5-line block ×5, first 2 shown]
	global_wb scope:SCOPE_SE
	s_wait_dscnt 0x0
	s_barrier_signal -1
	s_barrier_wait -1
	global_inv scope:SCOPE_SE
	ds_load_b128 v[36:39], v124
	ds_load_b128 v[32:35], v124 offset:896
	ds_load_b128 v[92:95], v124 offset:6400
	;; [unrolled: 1-line block ×20, first 2 shown]
	v_cmp_gt_u32_e64 s0, 32, v120
                                        ; implicit-def: $vgpr26_vgpr27
                                        ; implicit-def: $vgpr22_vgpr23
	s_delay_alu instid0(VALU_DEP_1)
	s_and_saveexec_b32 s1, s0
	s_cbranch_execz .LBB0_31
; %bb.30:
	ds_load_b128 v[4:7], v124 offset:2688
	ds_load_b128 v[8:11], v124 offset:5888
	;; [unrolled: 1-line block ×7, first 2 shown]
.LBB0_31:
	s_wait_alu 0xfffe
	s_or_b32 exec_lo, exec_lo, s1
	v_and_b32_e32 v112, 0xff, v127
	v_subrev_nc_u32_e32 v113, 40, v120
	v_cmp_gt_u32_e64 s1, 40, v120
	v_and_b32_e32 v115, 0xff, v126
	s_mov_b32 s10, 0x37e14327
	s_mov_b32 s2, 0x36b3c0b5
	;; [unrolled: 1-line block ×3, first 2 shown]
	s_wait_alu 0xf1ff
	v_cndmask_b32_e64 v114, v113, v120, s1
	v_mov_b32_e32 v113, 0
	v_mul_lo_u16 v112, 0xcd, v112
	v_mul_lo_u16 v118, 0xcd, v115
	s_mov_b32 s11, 0x3fe948f6
	s_mov_b32 s3, 0x3fac98ee
	;; [unrolled: 1-line block ×3, first 2 shown]
	v_lshrrev_b16 v117, 13, v112
	v_mul_i32_i24_e32 v112, 6, v114
	s_mov_b32 s6, 0x429ad128
	s_mov_b32 s7, 0x3febfeb5
	;; [unrolled: 1-line block ×3, first 2 shown]
	v_mul_lo_u16 v119, v117, 40
	v_lshlrev_b64_e32 v[115:116], 4, v[112:113]
	v_lshrrev_b16 v112, 13, v118
	s_mov_b32 s16, 0x5476071b
	s_mov_b32 s20, 0xb247c609
	v_sub_nc_u16 v128, v127, v119
	s_mov_b32 s13, 0xbff2aaaa
	v_add_co_u32 v118, s1, s4, v115
	s_wait_alu 0xf1ff
	v_add_co_ci_u32_e64 v119, s1, s5, v116, s1
	v_and_b32_e32 v115, 0xff, v128
	v_mul_lo_u16 v116, v112, 40
	s_clause 0x3
	global_load_b128 v[128:131], v[118:119], off offset:608
	global_load_b128 v[132:135], v[118:119], off offset:624
	;; [unrolled: 1-line block ×4, first 2 shown]
	v_mul_u32_u24_e32 v144, 6, v115
	v_sub_nc_u16 v116, v126, v116
	s_mov_b32 s17, 0x3fe77f67
	s_mov_b32 s19, 0xbfe77f67
	;; [unrolled: 1-line block ×3, first 2 shown]
	v_lshlrev_b32_e32 v188, 4, v144
	v_and_b32_e32 v116, 0xff, v116
	s_mov_b32 s18, s16
	s_mov_b32 s23, 0xbfd5d0dc
	s_wait_alu 0xfffe
	s_mov_b32 s22, s20
	s_clause 0x3
	global_load_b128 v[144:147], v188, s[4:5] offset:608
	global_load_b128 v[148:151], v188, s[4:5] offset:624
	;; [unrolled: 1-line block ×4, first 2 shown]
	v_mul_u32_u24_e32 v160, 6, v116
	s_mov_b32 s24, 0x37c3f68c
	s_mov_b32 s25, 0x3fdc38aa
	v_cmp_lt_u32_e64 s1, 39, v120
	v_and_b32_e32 v117, 0xffff, v117
	v_lshlrev_b32_e32 v196, 4, v160
	s_clause 0x9
	global_load_b128 v[160:163], v[118:119], off offset:640
	global_load_b128 v[164:167], v[118:119], off offset:656
	global_load_b128 v[168:171], v196, s[4:5] offset:608
	global_load_b128 v[172:175], v196, s[4:5] offset:624
	;; [unrolled: 1-line block ×8, first 2 shown]
	v_and_b32_e32 v112, 0xffff, v112
	v_lshlrev_b32_e32 v114, 4, v114
	v_mul_u32_u24_e32 v117, 0x1180, v117
	v_lshlrev_b32_e32 v115, 4, v115
	v_lshlrev_b32_e32 v116, 4, v116
	v_mul_u32_u24_e32 v112, 0x1180, v112
	global_wb scope:SCOPE_SE
	s_wait_loadcnt_dscnt 0x0
	s_barrier_signal -1
	v_add3_u32 v115, 0, v117, v115
	s_barrier_wait -1
	v_add3_u32 v112, 0, v112, v116
	global_inv scope:SCOPE_SE
	v_mul_f64_e32 v[118:119], v[106:107], v[130:131]
	v_mul_f64_e32 v[130:131], v[104:105], v[130:131]
	;; [unrolled: 1-line block ×32, first 2 shown]
	v_fma_f64 v[104:105], v[104:105], v[128:129], -v[118:119]
	v_fma_f64 v[106:107], v[106:107], v[128:129], v[130:131]
	v_fma_f64 v[92:93], v[92:93], v[132:133], -v[200:201]
	v_fma_f64 v[94:95], v[94:95], v[132:133], v[134:135]
	;; [unrolled: 2-line block ×4, first 2 shown]
	v_mul_f64_e32 v[118:119], v[42:43], v[194:195]
	v_mul_f64_e32 v[128:129], v[40:41], v[194:195]
	v_mul_f64_e32 v[130:131], v[46:47], v[198:199]
	v_mul_f64_e32 v[132:133], v[44:45], v[198:199]
	v_fma_f64 v[60:61], v[60:61], v[148:149], -v[208:209]
	v_fma_f64 v[88:89], v[88:89], v[144:145], -v[206:207]
	v_fma_f64 v[90:91], v[90:91], v[144:145], v[146:147]
	v_fma_f64 v[62:63], v[62:63], v[148:149], v[150:151]
	v_fma_f64 v[76:77], v[76:77], v[152:153], -v[210:211]
	v_fma_f64 v[78:79], v[78:79], v[152:153], v[154:155]
	v_fma_f64 v[96:97], v[96:97], v[156:157], -v[212:213]
	;; [unrolled: 2-line block ×7, first 2 shown]
	v_fma_f64 v[80:81], v[80:81], v[180:181], -v[224:225]
	v_fma_f64 v[82:83], v[82:83], v[180:181], v[182:183]
	v_fma_f64 v[74:75], v[74:75], v[176:177], v[178:179]
	v_fma_f64 v[52:53], v[52:53], v[184:185], -v[226:227]
	v_fma_f64 v[48:49], v[48:49], v[188:189], -v[228:229]
	v_fma_f64 v[54:55], v[54:55], v[184:185], v[186:187]
	v_fma_f64 v[50:51], v[50:51], v[188:189], v[190:191]
	v_add_f64_e32 v[134:135], v[104:105], v[100:101]
	v_add_f64_e32 v[136:137], v[106:107], v[102:103]
	v_add_f64_e32 v[138:139], v[92:93], v[108:109]
	v_add_f64_e32 v[140:141], v[94:95], v[110:111]
	v_fma_f64 v[40:41], v[40:41], v[192:193], -v[118:119]
	v_fma_f64 v[42:43], v[42:43], v[192:193], v[128:129]
	v_fma_f64 v[44:45], v[44:45], v[196:197], -v[130:131]
	v_fma_f64 v[46:47], v[46:47], v[196:197], v[132:133]
	v_add_f64_e64 v[92:93], v[92:93], -v[108:109]
	v_add_f64_e64 v[94:95], v[94:95], -v[110:111]
	;; [unrolled: 1-line block ×4, first 2 shown]
	v_add_f64_e32 v[118:119], v[88:89], v[76:77]
	v_add_f64_e32 v[128:129], v[90:91], v[78:79]
	;; [unrolled: 1-line block ×4, first 2 shown]
	v_add_f64_e64 v[60:61], v[60:61], -v[96:97]
	v_add_f64_e64 v[62:63], v[62:63], -v[98:99]
	v_add_f64_e32 v[108:109], v[84:85], v[56:57]
	v_add_f64_e32 v[142:143], v[86:87], v[58:59]
	v_add_f64_e64 v[56:57], v[56:57], -v[84:85]
	v_add_f64_e64 v[58:59], v[58:59], -v[86:87]
	v_add_f64_e32 v[110:111], v[68:69], v[72:73]
	v_add_f64_e32 v[84:85], v[64:65], v[80:81]
	;; [unrolled: 1-line block ×4, first 2 shown]
	v_add_f64_e64 v[68:69], v[68:69], -v[72:73]
	v_add_f64_e32 v[104:105], v[52:53], v[48:49]
	v_add_f64_e64 v[48:49], v[48:49], -v[52:53]
	v_add_f64_e32 v[106:107], v[54:55], v[50:51]
	v_add_f64_e64 v[50:51], v[50:51], -v[54:55]
	v_add_f64_e64 v[54:55], v[88:89], -v[76:77]
	;; [unrolled: 1-line block ×6, first 2 shown]
	v_add_f64_e32 v[52:53], v[138:139], v[134:135]
	v_add_f64_e32 v[96:97], v[140:141], v[136:137]
	v_add_f64_e64 v[80:81], v[140:141], -v[136:137]
	v_add_f64_e32 v[72:73], v[40:41], v[44:45]
	v_add_f64_e64 v[40:41], v[44:45], -v[40:41]
	;; [unrolled: 2-line block ×3, first 2 shown]
	v_add_f64_e64 v[46:47], v[138:139], -v[134:135]
	v_add_f64_e32 v[44:45], v[130:131], v[118:119]
	v_add_f64_e32 v[78:79], v[132:133], v[128:129]
	v_add_f64_e64 v[150:151], v[130:131], -v[118:119]
	v_add_f64_e64 v[152:153], v[132:133], -v[128:129]
	;; [unrolled: 1-line block ×8, first 2 shown]
	v_add_f64_e32 v[134:135], v[56:57], v[92:93]
	v_add_f64_e32 v[140:141], v[110:111], v[84:85]
	;; [unrolled: 1-line block ×4, first 2 shown]
	v_add_f64_e64 v[92:93], v[92:93], -v[100:101]
	v_add_f64_e64 v[94:95], v[94:95], -v[102:103]
	;; [unrolled: 1-line block ×4, first 2 shown]
	v_add_f64_e32 v[154:155], v[48:49], v[60:61]
	v_add_f64_e64 v[156:157], v[50:51], -v[62:63]
	v_add_f64_e64 v[130:131], v[104:105], -v[130:131]
	;; [unrolled: 1-line block ×7, first 2 shown]
	v_add_f64_e32 v[52:53], v[108:109], v[52:53]
	v_add_f64_e32 v[96:97], v[142:143], v[96:97]
	v_add_f64_e64 v[142:143], v[48:49], -v[60:61]
	v_add_f64_e32 v[108:109], v[50:51], v[62:63]
	v_add_f64_e64 v[60:61], v[60:61], -v[54:55]
	v_add_f64_e64 v[62:63], v[62:63], -v[76:77]
	v_add_f64_e32 v[162:163], v[40:41], v[68:69]
	v_add_f64_e64 v[84:85], v[84:85], -v[72:73]
	v_add_f64_e64 v[86:87], v[86:87], -v[74:75]
	v_add_f64_e64 v[164:165], v[42:43], -v[70:71]
	v_add_f64_e64 v[144:145], v[74:75], -v[144:145]
	v_add_f64_e64 v[48:49], v[54:55], -v[48:49]
	v_add_f64_e32 v[44:45], v[104:105], v[44:45]
	v_add_f64_e32 v[78:79], v[106:107], v[78:79]
	v_add_f64_e64 v[106:107], v[72:73], -v[110:111]
	v_add_f64_e64 v[110:111], v[40:41], -v[68:69]
	v_add_f64_e32 v[104:105], v[42:43], v[70:71]
	v_add_f64_e64 v[68:69], v[68:69], -v[64:65]
	v_add_f64_e64 v[70:71], v[70:71], -v[66:67]
	v_mul_f64_e32 v[82:83], s[10:11], v[82:83]
	v_mul_f64_e32 v[88:89], s[10:11], v[88:89]
	;; [unrolled: 1-line block ×4, first 2 shown]
	v_add_f64_e32 v[72:73], v[72:73], v[140:141]
	v_mul_f64_e32 v[140:141], s[2:3], v[90:91]
	v_add_f64_e32 v[74:75], v[74:75], v[146:147]
	v_mul_f64_e32 v[146:147], s[2:3], v[98:99]
	v_add_f64_e32 v[100:101], v[134:135], v[100:101]
	v_add_f64_e32 v[102:103], v[136:137], v[102:103]
	v_mul_f64_e32 v[134:135], s[6:7], v[92:93]
	v_mul_f64_e32 v[136:137], s[6:7], v[94:95]
	v_add_f64_e64 v[50:51], v[76:77], -v[50:51]
	v_mul_f64_e32 v[118:119], s[10:11], v[118:119]
	v_mul_f64_e32 v[128:129], s[10:11], v[128:129]
	v_add_f64_e32 v[54:55], v[154:155], v[54:55]
	v_mul_f64_e32 v[154:155], s[14:15], v[156:157]
	v_mul_f64_e32 v[166:167], s[2:3], v[130:131]
	;; [unrolled: 1-line block ×3, first 2 shown]
	v_add_f64_e32 v[36:37], v[36:37], v[52:53]
	v_add_f64_e32 v[38:39], v[38:39], v[96:97]
	v_mul_f64_e32 v[142:143], s[14:15], v[142:143]
	v_add_f64_e32 v[76:77], v[108:109], v[76:77]
	v_mul_f64_e32 v[108:109], s[6:7], v[60:61]
	v_mul_f64_e32 v[156:157], s[6:7], v[62:63]
	v_add_f64_e64 v[40:41], v[64:65], -v[40:41]
	v_add_f64_e64 v[42:43], v[66:67], -v[42:43]
	v_add_f64_e32 v[64:65], v[162:163], v[64:65]
	v_mul_f64_e32 v[84:85], s[10:11], v[84:85]
	v_mul_f64_e32 v[86:87], s[10:11], v[86:87]
	;; [unrolled: 1-line block ×3, first 2 shown]
	v_add_f64_e32 v[32:33], v[32:33], v[44:45]
	v_add_f64_e32 v[34:35], v[34:35], v[78:79]
	v_mul_f64_e32 v[164:165], s[2:3], v[144:145]
	v_mul_f64_e32 v[110:111], s[14:15], v[110:111]
	v_add_f64_e32 v[66:67], v[104:105], v[66:67]
	v_mul_f64_e32 v[170:171], s[6:7], v[68:69]
	v_mul_f64_e32 v[172:173], s[6:7], v[70:71]
	;; [unrolled: 1-line block ×3, first 2 shown]
	v_fma_f64 v[90:91], v[90:91], s[2:3], v[82:83]
	v_fma_f64 v[98:99], v[98:99], s[2:3], v[88:89]
	v_fma_f64 v[92:93], v[92:93], s[6:7], -v[138:139]
	v_add_f64_e32 v[28:29], v[28:29], v[72:73]
	v_fma_f64 v[140:141], v[46:47], s[16:17], -v[140:141]
	v_add_f64_e32 v[30:31], v[30:31], v[74:75]
	v_fma_f64 v[146:147], v[80:81], s[16:17], -v[146:147]
	v_fma_f64 v[46:47], v[46:47], s[18:19], -v[82:83]
	;; [unrolled: 1-line block ×3, first 2 shown]
	v_fma_f64 v[82:83], v[56:57], s[20:21], v[138:139]
	v_fma_f64 v[88:89], v[58:59], s[20:21], v[148:149]
	s_wait_alu 0xfffe
	v_fma_f64 v[56:57], v[56:57], s[22:23], -v[134:135]
	v_fma_f64 v[58:59], v[58:59], s[22:23], -v[136:137]
	;; [unrolled: 1-line block ×3, first 2 shown]
	v_fma_f64 v[130:131], v[130:131], s[2:3], v[118:119]
	v_fma_f64 v[132:133], v[132:133], s[2:3], v[128:129]
	;; [unrolled: 1-line block ×3, first 2 shown]
	v_fma_f64 v[118:119], v[150:151], s[18:19], -v[118:119]
	v_fma_f64 v[52:53], v[52:53], s[12:13], v[36:37]
	v_fma_f64 v[96:97], v[96:97], s[12:13], v[38:39]
	;; [unrolled: 1-line block ×3, first 2 shown]
	v_fma_f64 v[134:135], v[150:151], s[16:17], -v[166:167]
	v_fma_f64 v[48:49], v[48:49], s[22:23], -v[108:109]
	;; [unrolled: 1-line block ×7, first 2 shown]
	v_fma_f64 v[106:107], v[106:107], s[2:3], v[84:85]
	v_fma_f64 v[128:129], v[144:145], s[2:3], v[86:87]
	;; [unrolled: 1-line block ×6, first 2 shown]
	v_fma_f64 v[84:85], v[158:159], s[18:19], -v[84:85]
	v_fma_f64 v[40:41], v[40:41], s[22:23], -v[170:171]
	;; [unrolled: 1-line block ×7, first 2 shown]
	v_fma_f64 v[72:73], v[72:73], s[12:13], v[28:29]
	v_fma_f64 v[110:111], v[160:161], s[16:17], -v[164:165]
	v_fma_f64 v[74:75], v[74:75], s[12:13], v[30:31]
	v_fma_f64 v[92:93], v[100:101], s[24:25], v[92:93]
	;; [unrolled: 1-line block ×7, first 2 shown]
	v_add_f64_e32 v[90:91], v[90:91], v[52:53]
	v_add_f64_e32 v[98:99], v[98:99], v[96:97]
	;; [unrolled: 1-line block ×6, first 2 shown]
	v_fma_f64 v[102:103], v[54:55], s[24:25], v[138:139]
	v_fma_f64 v[138:139], v[76:77], s[24:25], v[148:149]
	;; [unrolled: 1-line block ×6, first 2 shown]
	v_add_f64_e32 v[130:131], v[130:131], v[44:45]
	v_add_f64_e32 v[132:133], v[132:133], v[78:79]
	;; [unrolled: 1-line block ×6, first 2 shown]
	v_fma_f64 v[134:135], v[64:65], s[24:25], v[142:143]
	v_fma_f64 v[136:137], v[66:67], s[24:25], v[144:145]
	v_fma_f64 v[152:153], v[64:65], s[24:25], v[40:41]
	v_fma_f64 v[154:155], v[66:67], s[24:25], v[42:43]
	v_fma_f64 v[142:143], v[64:65], s[24:25], v[68:69]
	v_add_f64_e32 v[156:157], v[106:107], v[72:73]
	v_add_f64_e32 v[106:107], v[84:85], v[72:73]
	;; [unrolled: 1-line block ×4, first 2 shown]
	v_fma_f64 v[144:145], v[66:67], s[24:25], v[70:71]
	v_add_f64_e32 v[104:105], v[104:105], v[72:73]
	v_add_f64_e32 v[110:111], v[110:111], v[74:75]
	;; [unrolled: 1-line block ×3, first 2 shown]
	v_add_f64_e64 v[42:43], v[98:99], -v[82:83]
	v_add_f64_e32 v[44:45], v[56:57], v[58:59]
	v_add_f64_e64 v[46:47], v[80:81], -v[100:101]
	v_add_f64_e64 v[48:49], v[52:53], -v[94:95]
	v_add_f64_e32 v[50:51], v[92:93], v[96:97]
	v_add_f64_e32 v[52:53], v[94:95], v[52:53]
	v_add_f64_e64 v[54:55], v[96:97], -v[92:93]
	v_add_f64_e64 v[56:57], v[58:59], -v[56:57]
	v_add_f64_e32 v[58:59], v[100:101], v[80:81]
	v_add_f64_e64 v[60:61], v[90:91], -v[88:89]
	v_add_f64_e32 v[62:63], v[82:83], v[98:99]
	v_add_f64_e32 v[64:65], v[138:139], v[130:131]
	v_add_f64_e64 v[66:67], v[132:133], -v[102:103]
	v_add_f64_e32 v[68:69], v[150:151], v[118:119]
	v_add_f64_e64 v[70:71], v[108:109], -v[148:149]
	v_add_f64_e64 v[72:73], v[76:77], -v[146:147]
	v_add_f64_e32 v[74:75], v[140:141], v[78:79]
	v_add_f64_e32 v[76:77], v[146:147], v[76:77]
	v_add_f64_e64 v[78:79], v[78:79], -v[140:141]
	v_add_f64_e64 v[80:81], v[118:119], -v[150:151]
	v_add_f64_e32 v[82:83], v[148:149], v[108:109]
	v_add_f64_e64 v[84:85], v[130:131], -v[138:139]
	v_add_f64_e32 v[86:87], v[102:103], v[132:133]
	v_add_f64_e32 v[88:89], v[136:137], v[156:157]
	v_add_f64_e64 v[90:91], v[128:129], -v[134:135]
	v_add_f64_e32 v[92:93], v[154:155], v[106:107]
	v_add_f64_e64 v[94:95], v[158:159], -v[152:153]
	v_add_f64_e64 v[96:97], v[104:105], -v[144:145]
	v_add_f64_e32 v[98:99], v[142:143], v[110:111]
	v_add_f64_e32 v[100:101], v[144:145], v[104:105]
	v_add_f64_e64 v[102:103], v[110:111], -v[142:143]
	v_add_f64_e64 v[104:105], v[106:107], -v[154:155]
	v_add_f64_e32 v[106:107], v[152:153], v[158:159]
	v_add_f64_e64 v[108:109], v[156:157], -v[136:137]
	v_add_f64_e32 v[110:111], v[134:135], v[128:129]
	s_wait_alu 0xf1ff
	v_cndmask_b32_e64 v118, 0, 0x1180, s1
	s_delay_alu instid0(VALU_DEP_1)
	v_add3_u32 v114, 0, v118, v114
	ds_store_b128 v114, v[36:39]
	ds_store_b128 v114, v[40:43] offset:640
	ds_store_b128 v114, v[44:47] offset:1280
	ds_store_b128 v114, v[48:51] offset:1920
	ds_store_b128 v114, v[52:55] offset:2560
	ds_store_b128 v114, v[56:59] offset:3200
	ds_store_b128 v114, v[60:63] offset:3840
	ds_store_b128 v115, v[32:35]
	ds_store_b128 v115, v[64:67] offset:640
	ds_store_b128 v115, v[68:71] offset:1280
	ds_store_b128 v115, v[72:75] offset:1920
	ds_store_b128 v115, v[76:79] offset:2560
	ds_store_b128 v115, v[80:83] offset:3200
	ds_store_b128 v115, v[84:87] offset:3840
	;; [unrolled: 7-line block ×3, first 2 shown]
	s_and_saveexec_b32 s1, s0
	s_cbranch_execz .LBB0_33
; %bb.32:
	v_and_b32_e32 v28, 0xff, v125
	s_delay_alu instid0(VALU_DEP_1) | instskip(NEXT) | instid1(VALU_DEP_1)
	v_mul_lo_u16 v28, 0xcd, v28
	v_lshrrev_b16 v28, 13, v28
	s_delay_alu instid0(VALU_DEP_1) | instskip(NEXT) | instid1(VALU_DEP_1)
	v_mul_lo_u16 v28, v28, 40
	v_sub_nc_u16 v28, v125, v28
	s_delay_alu instid0(VALU_DEP_1) | instskip(NEXT) | instid1(VALU_DEP_1)
	v_and_b32_e32 v64, 0xff, v28
	v_mul_u32_u24_e32 v28, 6, v64
	s_delay_alu instid0(VALU_DEP_1)
	v_lshlrev_b32_e32 v48, 4, v28
	s_clause 0x5
	global_load_b128 v[28:31], v48, s[4:5] offset:624
	global_load_b128 v[32:35], v48, s[4:5] offset:672
	;; [unrolled: 1-line block ×6, first 2 shown]
	s_wait_loadcnt 0x5
	v_mul_f64_e32 v[52:53], v[12:13], v[30:31]
	s_wait_loadcnt 0x4
	v_mul_f64_e32 v[54:55], v[20:21], v[34:35]
	;; [unrolled: 2-line block ×4, first 2 shown]
	v_mul_f64_e32 v[30:31], v[14:15], v[30:31]
	v_mul_f64_e32 v[34:35], v[22:23], v[34:35]
	v_mul_f64_e32 v[38:39], v[10:11], v[38:39]
	v_mul_f64_e32 v[42:43], v[26:27], v[42:43]
	s_wait_loadcnt 0x1
	v_mul_f64_e32 v[60:61], v[2:3], v[46:47]
	s_wait_loadcnt 0x0
	v_mul_f64_e32 v[62:63], v[18:19], v[50:51]
	v_mul_f64_e32 v[50:51], v[16:17], v[50:51]
	v_mul_f64_e32 v[46:47], v[0:1], v[46:47]
	v_fma_f64 v[14:15], v[14:15], v[28:29], v[52:53]
	v_fma_f64 v[22:23], v[22:23], v[32:33], v[54:55]
	v_fma_f64 v[10:11], v[10:11], v[36:37], v[56:57]
	v_fma_f64 v[26:27], v[26:27], v[40:41], v[58:59]
	v_fma_f64 v[12:13], v[12:13], v[28:29], -v[30:31]
	v_fma_f64 v[20:21], v[20:21], v[32:33], -v[34:35]
	;; [unrolled: 1-line block ×6, first 2 shown]
	v_fma_f64 v[18:19], v[18:19], v[48:49], v[50:51]
	v_fma_f64 v[2:3], v[2:3], v[44:45], v[46:47]
	v_add_f64_e32 v[28:29], v[14:15], v[22:23]
	v_add_f64_e64 v[14:15], v[14:15], -v[22:23]
	v_add_f64_e32 v[30:31], v[10:11], v[26:27]
	v_add_f64_e64 v[10:11], v[10:11], -v[26:27]
	v_add_f64_e32 v[32:33], v[12:13], v[20:21]
	v_add_f64_e64 v[12:13], v[12:13], -v[20:21]
	v_add_f64_e32 v[34:35], v[8:9], v[24:25]
	v_add_f64_e64 v[8:9], v[8:9], -v[24:25]
	v_add_f64_e64 v[36:37], v[0:1], -v[16:17]
	v_add_f64_e32 v[0:1], v[16:17], v[0:1]
	v_add_f64_e32 v[20:21], v[18:19], v[2:3]
	v_add_f64_e64 v[2:3], v[2:3], -v[18:19]
	v_add_f64_e32 v[16:17], v[28:29], v[30:31]
	v_add_f64_e64 v[42:43], v[14:15], -v[10:11]
	;; [unrolled: 2-line block ×3, first 2 shown]
	v_add_f64_e64 v[22:23], v[36:37], -v[12:13]
	v_add_f64_e64 v[26:27], v[34:35], -v[0:1]
	;; [unrolled: 1-line block ×5, first 2 shown]
	v_add_f64_e32 v[12:13], v[36:37], v[12:13]
	v_add_f64_e64 v[36:37], v[8:9], -v[36:37]
	v_add_f64_e32 v[14:15], v[2:3], v[14:15]
	v_add_f64_e64 v[48:49], v[10:11], -v[2:3]
	;; [unrolled: 2-line block ×3, first 2 shown]
	v_add_f64_e32 v[18:19], v[0:1], v[18:19]
	v_mul_f64_e32 v[46:47], s[6:7], v[38:39]
	v_mul_f64_e32 v[22:23], s[14:15], v[22:23]
	;; [unrolled: 1-line block ×4, first 2 shown]
	v_add_f64_e32 v[8:9], v[12:13], v[8:9]
	v_add_f64_e32 v[10:11], v[14:15], v[10:11]
	;; [unrolled: 1-line block ×3, first 2 shown]
	v_add_f64_e64 v[6:7], v[28:29], -v[30:31]
	v_mul_f64_e32 v[28:29], s[2:3], v[20:21]
	v_mul_f64_e32 v[30:31], s[14:15], v[40:41]
	v_add_f64_e32 v[0:1], v[4:5], v[18:19]
	v_mul_f64_e32 v[40:41], s[6:7], v[42:43]
	v_add_f64_e64 v[4:5], v[32:33], -v[34:35]
	v_mul_f64_e32 v[32:33], s[2:3], v[44:45]
	v_fma_f64 v[12:13], v[36:37], s[20:21], v[22:23]
	v_fma_f64 v[14:15], v[20:21], s[2:3], v[24:25]
	;; [unrolled: 1-line block ×3, first 2 shown]
	v_fma_f64 v[34:35], v[36:37], s[22:23], -v[46:47]
	v_fma_f64 v[22:23], v[38:39], s[6:7], -v[22:23]
	v_fma_f64 v[16:17], v[16:17], s[12:13], v[2:3]
	v_fma_f64 v[24:25], v[6:7], s[18:19], -v[24:25]
	v_fma_f64 v[6:7], v[6:7], s[16:17], -v[28:29]
	v_fma_f64 v[28:29], v[48:49], s[20:21], v[30:31]
	v_fma_f64 v[18:19], v[18:19], s[12:13], v[0:1]
	v_fma_f64 v[36:37], v[48:49], s[22:23], -v[40:41]
	v_fma_f64 v[26:27], v[4:5], s[18:19], -v[26:27]
	;; [unrolled: 1-line block ×4, first 2 shown]
	v_fma_f64 v[12:13], v[8:9], s[24:25], v[12:13]
	v_fma_f64 v[32:33], v[8:9], s[24:25], v[34:35]
	;; [unrolled: 1-line block ×3, first 2 shown]
	v_add_f64_e32 v[34:35], v[14:15], v[16:17]
	v_add_f64_e32 v[22:23], v[24:25], v[16:17]
	;; [unrolled: 1-line block ×3, first 2 shown]
	v_fma_f64 v[28:29], v[10:11], s[24:25], v[28:29]
	v_add_f64_e32 v[38:39], v[20:21], v[18:19]
	v_fma_f64 v[36:37], v[10:11], s[24:25], v[36:37]
	v_add_f64_e32 v[40:41], v[26:27], v[18:19]
	;; [unrolled: 2-line block ×3, first 2 shown]
	v_add_f64_e64 v[26:27], v[34:35], -v[12:13]
	v_add_f64_e32 v[10:11], v[32:33], v[22:23]
	v_add_f64_e64 v[22:23], v[22:23], -v[32:33]
	v_add_f64_e64 v[14:15], v[16:17], -v[8:9]
	v_add_f64_e32 v[24:25], v[28:29], v[38:39]
	v_add_f64_e32 v[18:19], v[8:9], v[16:17]
	;; [unrolled: 1-line block ×4, first 2 shown]
	v_add_f64_e64 v[16:17], v[4:5], -v[30:31]
	v_add_f64_e32 v[12:13], v[30:31], v[4:5]
	v_add_f64_e64 v[8:9], v[40:41], -v[36:37]
	v_add_f64_e64 v[4:5], v[38:39], -v[28:29]
	v_lshl_add_u32 v28, v64, 4, 0
	ds_store_b128 v28, v[0:3] offset:17920
	ds_store_b128 v28, v[24:27] offset:18560
	;; [unrolled: 1-line block ×7, first 2 shown]
.LBB0_33:
	s_wait_alu 0xfffe
	s_or_b32 exec_lo, exec_lo, s1
	v_lshlrev_b32_e32 v112, 2, v120
	global_wb scope:SCOPE_SE
	s_wait_dscnt 0x0
	s_barrier_signal -1
	s_barrier_wait -1
	global_inv scope:SCOPE_SE
	v_lshlrev_b64_e32 v[0:1], 4, v[112:113]
	v_lshlrev_b32_e32 v112, 2, v127
	s_mov_b32 s11, 0xbfee6f0e
	s_mov_b32 s7, 0xbfe2cf23
	;; [unrolled: 1-line block ×4, first 2 shown]
	v_add_co_u32 v0, s0, s4, v0
	v_lshlrev_b64_e32 v[2:3], 4, v[112:113]
	s_wait_alu 0xf1ff
	v_add_co_ci_u32_e64 v1, s0, s5, v1, s0
	v_lshlrev_b32_e32 v112, 2, v126
	s_delay_alu instid0(VALU_DEP_3)
	v_add_co_u32 v2, s0, s4, v2
	global_load_b128 v[20:23], v[0:1], off offset:4448
	s_wait_alu 0xf1ff
	v_add_co_ci_u32_e64 v3, s0, s5, v3, s0
	s_clause 0x4
	global_load_b128 v[24:27], v[0:1], off offset:4464
	global_load_b128 v[30:33], v[0:1], off offset:4480
	global_load_b128 v[34:37], v[0:1], off offset:4496
	global_load_b128 v[40:43], v[2:3], off offset:4464
	global_load_b128 v[44:47], v[2:3], off offset:4448
	v_lshlrev_b64_e32 v[4:5], 4, v[112:113]
	v_lshlrev_b32_e32 v112, 2, v125
	s_delay_alu instid0(VALU_DEP_2) | instskip(SKIP_1) | instid1(VALU_DEP_3)
	v_add_co_u32 v0, s0, s4, v4
	s_wait_alu 0xf1ff
	v_add_co_ci_u32_e64 v1, s0, s5, v5, s0
	s_delay_alu instid0(VALU_DEP_3)
	v_lshlrev_b64_e32 v[4:5], 4, v[112:113]
	v_lshlrev_b32_e32 v112, 2, v121
	s_clause 0x3
	global_load_b128 v[48:51], v[2:3], off offset:4496
	global_load_b128 v[52:55], v[2:3], off offset:4480
	;; [unrolled: 1-line block ×4, first 2 shown]
	v_add_co_u32 v2, s0, s4, v4
	s_wait_alu 0xf1ff
	v_add_co_ci_u32_e64 v3, s0, s5, v5, s0
	v_lshlrev_b64_e32 v[4:5], 4, v[112:113]
	s_clause 0x3
	global_load_b128 v[64:67], v[0:1], off offset:4480
	global_load_b128 v[68:71], v[0:1], off offset:4496
	;; [unrolled: 1-line block ×4, first 2 shown]
	v_add_co_u32 v0, s0, s4, v4
	s_wait_alu 0xf1ff
	v_add_co_ci_u32_e64 v1, s0, s5, v5, s0
	s_clause 0x5
	global_load_b128 v[80:83], v[2:3], off offset:4480
	global_load_b128 v[84:87], v[2:3], off offset:4496
	;; [unrolled: 1-line block ×6, first 2 shown]
	ds_load_b128 v[104:107], v124 offset:4480
	ds_load_b128 v[108:111], v124 offset:13440
	ds_load_b128 v[16:19], v124
	ds_load_b128 v[12:15], v124 offset:896
	ds_load_b128 v[112:115], v124 offset:8960
	;; [unrolled: 1-line block ×22, first 2 shown]
	s_mov_b32 s4, 0x134454ff
	s_mov_b32 s5, 0x3fee6f0e
	s_wait_alu 0xfffe
	s_mov_b32 s10, s4
	s_mov_b32 s0, 0x4755a5e
	;; [unrolled: 1-line block ×3, first 2 shown]
	s_wait_alu 0xfffe
	s_mov_b32 s6, s0
	global_wb scope:SCOPE_SE
	s_wait_loadcnt_dscnt 0x0
	s_barrier_signal -1
	s_barrier_wait -1
	global_inv scope:SCOPE_SE
	v_mul_f64_e32 v[38:39], v[114:115], v[26:27]
	v_mul_f64_e32 v[28:29], v[106:107], v[22:23]
	;; [unrolled: 1-line block ×36, first 2 shown]
	v_fma_f64 v[104:105], v[104:105], v[20:21], -v[28:29]
	v_fma_f64 v[106:107], v[106:107], v[20:21], v[22:23]
	v_mul_f64_e32 v[20:21], v[175:176], v[94:95]
	v_mul_f64_e32 v[94:95], v[173:174], v[94:95]
	v_fma_f64 v[112:113], v[112:113], v[24:25], -v[38:39]
	v_fma_f64 v[114:115], v[114:115], v[24:25], v[26:27]
	v_mul_f64_e32 v[26:27], v[187:188], v[102:103]
	v_mul_f64_e32 v[102:103], v[185:186], v[102:103]
	v_fma_f64 v[108:109], v[108:109], v[30:31], -v[189:190]
	v_fma_f64 v[28:29], v[127:128], v[34:35], v[36:37]
	v_fma_f64 v[110:111], v[110:111], v[30:31], v[32:33]
	v_fma_f64 v[38:39], v[125:126], v[34:35], -v[191:192]
	v_fma_f64 v[125:126], v[133:134], v[44:45], -v[193:194]
	v_fma_f64 v[44:45], v[135:136], v[44:45], v[46:47]
	v_fma_f64 v[46:47], v[116:117], v[40:41], -v[195:196]
	v_fma_f64 v[40:41], v[118:119], v[40:41], v[42:43]
	;; [unrolled: 2-line block ×15, first 2 shown]
	v_add_f64_e32 v[86:87], v[16:17], v[104:105]
	v_add_f64_e64 v[94:95], v[104:105], -v[112:113]
	v_fma_f64 v[26:27], v[185:186], v[100:101], -v[26:27]
	v_fma_f64 v[20:21], v[187:188], v[100:101], v[102:103]
	v_add_f64_e32 v[88:89], v[112:113], v[108:109]
	v_add_f64_e32 v[133:134], v[106:107], v[28:29]
	;; [unrolled: 1-line block ×4, first 2 shown]
	v_add_f64_e64 v[96:97], v[38:39], -v[108:109]
	v_add_f64_e32 v[116:117], v[18:19], v[106:107]
	v_add_f64_e64 v[90:91], v[106:107], -v[28:29]
	v_add_f64_e64 v[129:130], v[106:107], -v[114:115]
	;; [unrolled: 1-line block ×5, first 2 shown]
	v_add_f64_e32 v[137:138], v[12:13], v[125:126]
	v_add_f64_e32 v[139:140], v[46:47], v[42:43]
	;; [unrolled: 1-line block ×6, first 2 shown]
	v_add_f64_e64 v[141:142], v[44:45], -v[30:31]
	v_add_f64_e64 v[145:146], v[125:126], -v[46:47]
	;; [unrolled: 1-line block ×8, first 2 shown]
	v_add_f64_e32 v[169:170], v[8:9], v[48:49]
	v_add_f64_e32 v[171:172], v[54:55], v[58:59]
	v_add_f64_e32 v[187:188], v[10:11], v[50:51]
	v_add_f64_e32 v[189:190], v[56:57], v[60:61]
	v_add_f64_e32 v[181:182], v[48:49], v[34:35]
	v_add_f64_e32 v[197:198], v[50:51], v[24:25]
	v_add_f64_e64 v[173:174], v[50:51], -v[24:25]
	v_add_f64_e64 v[193:194], v[50:51], -v[56:57]
	;; [unrolled: 1-line block ×4, first 2 shown]
	v_add_f64_e32 v[201:202], v[4:5], v[62:63]
	v_add_f64_e32 v[203:204], v[66:67], v[70:71]
	;; [unrolled: 1-line block ×6, first 2 shown]
	v_add_f64_e64 v[100:101], v[112:113], -v[104:105]
	v_add_f64_e64 v[102:103], v[108:109], -v[38:39]
	;; [unrolled: 1-line block ×8, first 2 shown]
	v_add_f64_e32 v[233:234], v[0:1], v[74:75]
	v_add_f64_e32 v[235:236], v[78:79], v[82:83]
	;; [unrolled: 1-line block ×5, first 2 shown]
	v_fma_f64 v[88:89], v[88:89], -0.5, v[16:17]
	v_fma_f64 v[16:17], v[98:99], -0.5, v[16:17]
	v_fma_f64 v[98:99], v[118:119], -0.5, v[18:19]
	v_fma_f64 v[18:19], v[133:134], -0.5, v[18:19]
	v_add_f64_e32 v[133:134], v[76:77], v[20:21]
	v_add_f64_e64 v[92:93], v[114:115], -v[110:111]
	v_add_f64_e64 v[104:105], v[104:105], -v[38:39]
	;; [unrolled: 1-line block ×3, first 2 shown]
	v_add_f64_e32 v[86:87], v[86:87], v[112:113]
	v_add_f64_e64 v[112:113], v[80:81], -v[76:77]
	v_add_f64_e32 v[94:95], v[94:95], v[96:97]
	v_add_f64_e64 v[96:97], v[84:85], -v[20:21]
	;; [unrolled: 2-line block ×3, first 2 shown]
	v_add_f64_e64 v[159:160], v[46:47], -v[42:43]
	v_add_f64_e64 v[183:184], v[54:55], -v[48:49]
	;; [unrolled: 1-line block ×3, first 2 shown]
	v_add_f64_e32 v[129:130], v[129:130], v[131:132]
	v_add_f64_e32 v[106:107], v[106:107], v[135:136]
	v_fma_f64 v[131:132], v[139:140], -0.5, v[12:13]
	v_fma_f64 v[12:13], v[149:150], -0.5, v[12:13]
	;; [unrolled: 1-line block ×4, first 2 shown]
	v_add_f64_e32 v[46:47], v[137:138], v[46:47]
	v_add_f64_e64 v[125:126], v[125:126], -v[36:37]
	v_add_f64_e32 v[40:41], v[155:156], v[40:41]
	v_add_f64_e64 v[175:176], v[56:57], -v[60:61]
	v_add_f64_e64 v[48:49], v[48:49], -v[34:35]
	;; [unrolled: 1-line block ×3, first 2 shown]
	v_add_f64_e32 v[137:138], v[145:146], v[147:148]
	v_add_f64_e32 v[139:140], v[151:152], v[153:154]
	;; [unrolled: 1-line block ×4, first 2 shown]
	v_fma_f64 v[54:55], v[171:172], -0.5, v[8:9]
	v_add_f64_e32 v[56:57], v[187:188], v[56:57]
	v_fma_f64 v[153:154], v[189:190], -0.5, v[10:11]
	v_add_f64_e64 v[195:196], v[24:25], -v[60:61]
	v_fma_f64 v[8:9], v[181:182], -0.5, v[8:9]
	v_fma_f64 v[10:11], v[197:198], -0.5, v[10:11]
	v_add_f64_e64 v[207:208], v[68:69], -v[72:73]
	v_add_f64_e64 v[209:210], v[62:63], -v[66:67]
	;; [unrolled: 1-line block ×4, first 2 shown]
	v_add_f64_e32 v[157:158], v[50:51], v[199:200]
	v_add_f64_e32 v[50:51], v[201:202], v[66:67]
	v_fma_f64 v[66:67], v[203:204], -0.5, v[4:5]
	v_fma_f64 v[4:5], v[213:214], -0.5, v[4:5]
	;; [unrolled: 1-line block ×4, first 2 shown]
	v_add_f64_e64 v[62:63], v[62:63], -v[32:33]
	v_add_f64_e32 v[68:69], v[219:220], v[68:69]
	v_add_f64_e64 v[237:238], v[74:75], -v[78:79]
	v_add_f64_e64 v[243:244], v[78:79], -v[74:75]
	;; [unrolled: 1-line block ×4, first 2 shown]
	v_add_f64_e32 v[100:101], v[100:101], v[102:103]
	v_add_f64_e64 v[102:103], v[80:81], -v[84:85]
	v_add_f64_e64 v[74:75], v[74:75], -v[26:27]
	;; [unrolled: 1-line block ×3, first 2 shown]
	v_add_f64_e32 v[149:150], v[177:178], v[179:180]
	v_add_f64_e32 v[169:170], v[64:65], v[231:232]
	;; [unrolled: 1-line block ×3, first 2 shown]
	v_fma_f64 v[78:79], v[235:236], -0.5, v[0:1]
	v_add_f64_e32 v[80:81], v[247:248], v[80:81]
	v_fma_f64 v[179:180], v[249:250], -0.5, v[2:3]
	v_add_f64_e64 v[163:164], v[30:31], -v[52:53]
	v_add_f64_e64 v[211:212], v[32:33], -v[70:71]
	v_fma_f64 v[0:1], v[241:242], -0.5, v[0:1]
	v_fma_f64 v[2:3], v[133:134], -0.5, v[2:3]
	v_add_f64_e32 v[112:113], v[112:113], v[96:97]
	v_add_f64_e32 v[86:87], v[86:87], v[108:109]
	v_fma_f64 v[96:97], v[90:91], s[4:5], v[88:89]
	v_fma_f64 v[88:89], v[90:91], s[10:11], v[88:89]
	v_add_f64_e32 v[110:111], v[114:115], v[110:111]
	v_fma_f64 v[114:115], v[104:105], s[10:11], v[98:99]
	v_fma_f64 v[108:109], v[92:93], s[10:11], v[16:17]
	;; [unrolled: 1-line block ×4, first 2 shown]
	v_add_f64_e32 v[151:152], v[183:184], v[185:186]
	v_add_f64_e32 v[42:43], v[46:47], v[42:43]
	v_fma_f64 v[46:47], v[141:142], s[4:5], v[131:132]
	v_fma_f64 v[181:182], v[143:144], s[10:11], v[12:13]
	;; [unrolled: 1-line block ×4, first 2 shown]
	v_add_f64_e32 v[40:41], v[40:41], v[52:53]
	v_fma_f64 v[52:53], v[125:126], s[10:11], v[135:136]
	v_fma_f64 v[135:136], v[125:126], s[4:5], v[135:136]
	v_add_f64_e32 v[44:45], v[44:45], v[58:59]
	v_fma_f64 v[58:59], v[173:174], s[4:5], v[54:55]
	v_fma_f64 v[54:55], v[173:174], s[10:11], v[54:55]
	;; [unrolled: 3-line block ×3, first 2 shown]
	v_fma_f64 v[14:15], v[159:160], s[10:11], v[14:15]
	v_add_f64_e32 v[155:156], v[193:194], v[195:196]
	v_fma_f64 v[187:188], v[175:176], s[4:5], v[8:9]
	v_fma_f64 v[193:194], v[191:192], s[10:11], v[10:11]
	;; [unrolled: 1-line block ×4, first 2 shown]
	v_add_f64_e64 v[217:218], v[70:71], -v[32:33]
	v_fma_f64 v[195:196], v[207:208], s[10:11], v[4:5]
	v_fma_f64 v[199:200], v[223:224], s[4:5], v[6:7]
	;; [unrolled: 1-line block ×3, first 2 shown]
	v_add_f64_e64 v[227:228], v[22:23], -v[72:73]
	v_add_f64_e32 v[50:51], v[50:51], v[70:71]
	v_fma_f64 v[70:71], v[205:206], s[4:5], v[66:67]
	v_fma_f64 v[66:67], v[205:206], s[10:11], v[66:67]
	v_add_f64_e32 v[68:69], v[68:69], v[72:73]
	v_fma_f64 v[72:73], v[62:63], s[10:11], v[165:166]
	v_fma_f64 v[165:166], v[62:63], s[4:5], v[165:166]
	v_add_f64_e64 v[239:240], v[26:27], -v[82:83]
	v_add_f64_e64 v[245:246], v[82:83], -v[26:27]
	;; [unrolled: 1-line block ×3, first 2 shown]
	v_add_f64_e32 v[64:65], v[64:65], v[82:83]
	v_fma_f64 v[82:83], v[76:77], s[4:5], v[78:79]
	v_add_f64_e32 v[80:81], v[80:81], v[84:85]
	v_fma_f64 v[84:85], v[74:75], s[10:11], v[179:180]
	v_fma_f64 v[16:17], v[92:93], s[4:5], v[16:17]
	;; [unrolled: 1-line block ×3, first 2 shown]
	v_add_f64_e32 v[145:146], v[161:162], v[163:164]
	v_add_f64_e32 v[161:162], v[209:210], v[211:212]
	v_fma_f64 v[203:204], v[102:103], s[10:11], v[0:1]
	v_fma_f64 v[179:180], v[74:75], s[4:5], v[179:180]
	;; [unrolled: 1-line block ×8, first 2 shown]
	v_add_f64_e32 v[0:1], v[86:87], v[38:39]
	v_fma_f64 v[38:39], v[92:93], s[0:1], v[96:97]
	s_wait_alu 0xfffe
	v_fma_f64 v[86:87], v[92:93], s[6:7], v[88:89]
	v_fma_f64 v[92:93], v[127:128], s[6:7], v[114:115]
	;; [unrolled: 1-line block ×5, first 2 shown]
	v_add_f64_e32 v[4:5], v[42:43], v[36:37]
	v_fma_f64 v[36:37], v[143:144], s[0:1], v[46:47]
	v_fma_f64 v[46:47], v[141:142], s[0:1], v[181:182]
	;; [unrolled: 1-line block ×3, first 2 shown]
	v_add_f64_e32 v[2:3], v[110:111], v[28:29]
	v_fma_f64 v[42:43], v[143:144], s[6:7], v[131:132]
	v_fma_f64 v[110:111], v[159:160], s[0:1], v[135:136]
	v_fma_f64 v[52:53], v[159:160], s[6:7], v[52:53]
	v_fma_f64 v[58:59], v[175:176], s[0:1], v[58:59]
	v_fma_f64 v[54:55], v[175:176], s[6:7], v[54:55]
	v_fma_f64 v[133:134], v[191:192], s[6:7], v[60:61]
	v_fma_f64 v[108:109], v[141:142], s[6:7], v[12:13]
	v_fma_f64 v[125:126], v[125:126], s[0:1], v[14:15]
	v_fma_f64 v[131:132], v[173:174], s[6:7], v[187:188]
	v_fma_f64 v[143:144], v[48:49], s[0:1], v[193:194]
	v_fma_f64 v[127:128], v[173:174], s[0:1], v[185:186]
	v_fma_f64 v[141:142], v[48:49], s[6:7], v[189:190]
	v_add_f64_e32 v[163:164], v[215:216], v[217:218]
	v_fma_f64 v[159:160], v[205:206], s[0:1], v[195:196]
	v_fma_f64 v[181:182], v[62:63], s[6:7], v[199:200]
	;; [unrolled: 1-line block ×3, first 2 shown]
	v_add_f64_e32 v[167:168], v[225:226], v[227:228]
	v_fma_f64 v[153:154], v[207:208], s[6:7], v[66:67]
	v_fma_f64 v[165:166], v[223:224], s[0:1], v[165:166]
	;; [unrolled: 1-line block ×4, first 2 shown]
	v_add_f64_e32 v[171:172], v[237:238], v[239:240]
	v_add_f64_e32 v[118:119], v[251:252], v[118:119]
	v_fma_f64 v[185:186], v[102:103], s[0:1], v[82:83]
	v_fma_f64 v[191:192], v[116:117], s[6:7], v[84:85]
	;; [unrolled: 1-line block ×4, first 2 shown]
	v_add_f64_e32 v[177:178], v[243:244], v[245:246]
	v_fma_f64 v[187:188], v[76:77], s[0:1], v[203:204]
	v_fma_f64 v[116:117], v[116:117], s[0:1], v[179:180]
	;; [unrolled: 1-line block ×8, first 2 shown]
	v_add_f64_e32 v[6:7], v[40:41], v[30:31]
	v_add_f64_e32 v[8:9], v[44:45], v[34:35]
	;; [unrolled: 1-line block ×6, first 2 shown]
	v_fma_f64 v[20:21], v[94:95], s[2:3], v[38:39]
	v_fma_f64 v[22:23], v[129:130], s[2:3], v[92:93]
	v_add_f64_e32 v[16:17], v[64:65], v[26:27]
	v_fma_f64 v[28:29], v[100:101], s[2:3], v[88:89]
	v_fma_f64 v[30:31], v[106:107], s[2:3], v[98:99]
	v_fma_f64 v[44:45], v[139:140], s[2:3], v[46:47]
	v_fma_f64 v[46:47], v[147:148], s[2:3], v[114:115]
	v_fma_f64 v[24:25], v[94:95], s[2:3], v[86:87]
	v_fma_f64 v[26:27], v[129:130], s[2:3], v[96:97]
	v_fma_f64 v[40:41], v[137:138], s[2:3], v[42:43]
	v_fma_f64 v[42:43], v[145:146], s[2:3], v[110:111]
	v_fma_f64 v[36:37], v[137:138], s[2:3], v[36:37]
	v_fma_f64 v[38:39], v[145:146], s[2:3], v[52:53]
	v_fma_f64 v[52:53], v[149:150], s[2:3], v[58:59]
	v_fma_f64 v[56:57], v[149:150], s[2:3], v[54:55]
	v_fma_f64 v[54:55], v[155:156], s[2:3], v[133:134]
	v_fma_f64 v[48:49], v[139:140], s[2:3], v[108:109]
	v_fma_f64 v[50:51], v[147:148], s[2:3], v[125:126]
	v_fma_f64 v[64:65], v[151:152], s[2:3], v[131:132]
	v_fma_f64 v[66:67], v[157:158], s[2:3], v[143:144]
	v_fma_f64 v[60:61], v[151:152], s[2:3], v[127:128]
	v_fma_f64 v[62:63], v[157:158], s[2:3], v[141:142]
	v_fma_f64 v[76:77], v[163:164], s[2:3], v[159:160]
	v_fma_f64 v[78:79], v[169:170], s[2:3], v[181:182]
	v_fma_f64 v[58:59], v[155:156], s[2:3], v[135:136]
	v_fma_f64 v[72:73], v[161:162], s[2:3], v[153:154]
	v_fma_f64 v[74:75], v[167:168], s[2:3], v[165:166]
	v_fma_f64 v[68:69], v[161:162], s[2:3], v[70:71]
	v_fma_f64 v[70:71], v[167:168], s[2:3], v[175:176]
	v_fma_f64 v[84:85], v[171:172], s[2:3], v[185:186]
	v_fma_f64 v[86:87], v[118:119], s[2:3], v[191:192]
	v_fma_f64 v[32:33], v[100:101], s[2:3], v[90:91]
	v_fma_f64 v[34:35], v[106:107], s[2:3], v[104:105]
	v_fma_f64 v[92:93], v[177:178], s[2:3], v[187:188]
	v_fma_f64 v[94:95], v[112:113], s[2:3], v[179:180]
	v_fma_f64 v[80:81], v[163:164], s[2:3], v[173:174]
	v_fma_f64 v[82:83], v[169:170], s[2:3], v[183:184]
	v_fma_f64 v[96:97], v[177:178], s[2:3], v[189:190]
	v_fma_f64 v[98:99], v[112:113], s[2:3], v[193:194]
	v_fma_f64 v[88:89], v[171:172], s[2:3], v[102:103]
	v_fma_f64 v[90:91], v[118:119], s[2:3], v[116:117]
	ds_store_b128 v124, v[0:3]
	ds_store_b128 v124, v[4:7] offset:896
	ds_store_b128 v124, v[8:11] offset:1792
	ds_store_b128 v124, v[12:15] offset:2688
	ds_store_b128 v124, v[20:23] offset:4480
	ds_store_b128 v124, v[16:19] offset:3584
	ds_store_b128 v124, v[28:31] offset:8960
	ds_store_b128 v124, v[44:47] offset:9856
	ds_store_b128 v124, v[24:27] offset:17920
	ds_store_b128 v124, v[40:43] offset:18816
	ds_store_b128 v124, v[36:39] offset:5376
	ds_store_b128 v124, v[52:55] offset:6272
	ds_store_b128 v124, v[48:51] offset:14336
	ds_store_b128 v124, v[64:67] offset:15232
	ds_store_b128 v124, v[60:63] offset:10752
	ds_store_b128 v124, v[76:79] offset:11648
	ds_store_b128 v124, v[56:59] offset:19712
	ds_store_b128 v124, v[72:75] offset:20608
	ds_store_b128 v124, v[68:71] offset:7168
	ds_store_b128 v124, v[84:87] offset:8064
	ds_store_b128 v124, v[32:35] offset:13440
	ds_store_b128 v124, v[92:95] offset:12544
	ds_store_b128 v124, v[80:83] offset:16128
	ds_store_b128 v124, v[96:99] offset:17024
	ds_store_b128 v124, v[88:91] offset:21504
	global_wb scope:SCOPE_SE
	s_wait_dscnt 0x0
	s_barrier_signal -1
	s_barrier_wait -1
	global_inv scope:SCOPE_SE
	s_and_saveexec_b32 s0, vcc_lo
	s_cbranch_execz .LBB0_35
; %bb.34:
	v_dual_mov_b32 v121, 0 :: v_dual_add_nc_u32 v8, 56, v120
	v_add_co_u32 v30, vcc_lo, s8, v122
	v_lshl_add_u32 v28, v120, 4, 0
	s_delay_alu instid0(VALU_DEP_3) | instskip(SKIP_4) | instid1(VALU_DEP_4)
	v_lshlrev_b64_e32 v[0:1], 4, v[120:121]
	s_wait_alu 0xfffd
	v_add_co_ci_u32_e32 v31, vcc_lo, s9, v123, vcc_lo
	v_dual_mov_b32 v9, v121 :: v_dual_add_nc_u32 v10, 0x70, v120
	v_dual_mov_b32 v11, v121 :: v_dual_add_nc_u32 v22, 0xa8, v120
	v_add_co_u32 v16, vcc_lo, v30, v0
	s_wait_alu 0xfffd
	v_add_co_ci_u32_e32 v17, vcc_lo, v31, v1, vcc_lo
	ds_load_b128 v[0:3], v28
	ds_load_b128 v[4:7], v28 offset:896
	v_lshlrev_b64_e32 v[18:19], 4, v[8:9]
	v_lshlrev_b64_e32 v[20:21], 4, v[10:11]
	ds_load_b128 v[8:11], v28 offset:1792
	ds_load_b128 v[12:15], v28 offset:2688
	v_dual_mov_b32 v23, v121 :: v_dual_add_nc_u32 v24, 0xe0, v120
	v_mov_b32_e32 v25, v121
	v_add_co_u32 v18, vcc_lo, v30, v18
	s_delay_alu instid0(VALU_DEP_3)
	v_lshlrev_b64_e32 v[22:23], 4, v[22:23]
	s_wait_alu 0xfffd
	v_add_co_ci_u32_e32 v19, vcc_lo, v31, v19, vcc_lo
	v_add_co_u32 v20, vcc_lo, v30, v20
	s_wait_alu 0xfffd
	v_add_co_ci_u32_e32 v21, vcc_lo, v31, v21, vcc_lo
	v_add_co_u32 v22, vcc_lo, v30, v22
	s_wait_alu 0xfffd
	v_add_co_ci_u32_e32 v23, vcc_lo, v31, v23, vcc_lo
	s_wait_dscnt 0x3
	global_store_b128 v[16:17], v[0:3], off
	s_wait_dscnt 0x2
	global_store_b128 v[18:19], v[4:7], off
	;; [unrolled: 2-line block ×4, first 2 shown]
	v_add_nc_u32_e32 v8, 0x118, v120
	v_lshlrev_b64_e32 v[0:1], 4, v[24:25]
	v_dual_mov_b32 v9, v121 :: v_dual_add_nc_u32 v10, 0x150, v120
	v_dual_mov_b32 v11, v121 :: v_dual_add_nc_u32 v22, 0x188, v120
	;; [unrolled: 1-line block ×3, first 2 shown]
	s_delay_alu instid0(VALU_DEP_4)
	v_add_co_u32 v16, vcc_lo, v30, v0
	s_wait_alu 0xfffd
	v_add_co_ci_u32_e32 v17, vcc_lo, v31, v1, vcc_lo
	ds_load_b128 v[0:3], v28 offset:3584
	ds_load_b128 v[4:7], v28 offset:4480
	v_lshlrev_b64_e32 v[18:19], 4, v[8:9]
	v_lshlrev_b64_e32 v[20:21], 4, v[10:11]
	ds_load_b128 v[8:11], v28 offset:5376
	ds_load_b128 v[12:15], v28 offset:6272
	v_lshlrev_b64_e32 v[22:23], 4, v[22:23]
	v_add_co_u32 v18, vcc_lo, v30, v18
	s_wait_alu 0xfffd
	v_add_co_ci_u32_e32 v19, vcc_lo, v31, v19, vcc_lo
	v_add_co_u32 v20, vcc_lo, v30, v20
	s_wait_alu 0xfffd
	v_add_co_ci_u32_e32 v21, vcc_lo, v31, v21, vcc_lo
	;; [unrolled: 3-line block ×3, first 2 shown]
	s_wait_dscnt 0x3
	global_store_b128 v[16:17], v[0:3], off
	s_wait_dscnt 0x2
	global_store_b128 v[18:19], v[4:7], off
	s_wait_dscnt 0x1
	global_store_b128 v[20:21], v[8:11], off
	s_wait_dscnt 0x0
	global_store_b128 v[22:23], v[12:15], off
	v_lshlrev_b64_e32 v[0:1], 4, v[24:25]
	v_dual_mov_b32 v9, v121 :: v_dual_add_nc_u32 v8, 0x1f8, v120
	v_dual_mov_b32 v11, v121 :: v_dual_add_nc_u32 v10, 0x230, v120
	;; [unrolled: 1-line block ×3, first 2 shown]
	s_delay_alu instid0(VALU_DEP_4)
	v_add_co_u32 v16, vcc_lo, v30, v0
	s_wait_alu 0xfffd
	v_add_co_ci_u32_e32 v17, vcc_lo, v31, v1, vcc_lo
	ds_load_b128 v[0:3], v28 offset:7168
	ds_load_b128 v[4:7], v28 offset:8064
	v_lshlrev_b64_e32 v[18:19], 4, v[8:9]
	v_lshlrev_b64_e32 v[20:21], 4, v[10:11]
	ds_load_b128 v[8:11], v28 offset:8960
	ds_load_b128 v[12:15], v28 offset:9856
	v_lshlrev_b64_e32 v[22:23], 4, v[22:23]
	v_add_nc_u32_e32 v24, 0x2a0, v120
	v_add_co_u32 v18, vcc_lo, v30, v18
	s_wait_alu 0xfffd
	v_add_co_ci_u32_e32 v19, vcc_lo, v31, v19, vcc_lo
	v_add_co_u32 v20, vcc_lo, v30, v20
	s_wait_alu 0xfffd
	v_add_co_ci_u32_e32 v21, vcc_lo, v31, v21, vcc_lo
	;; [unrolled: 3-line block ×3, first 2 shown]
	s_wait_dscnt 0x3
	global_store_b128 v[16:17], v[0:3], off
	s_wait_dscnt 0x2
	global_store_b128 v[18:19], v[4:7], off
	;; [unrolled: 2-line block ×4, first 2 shown]
	v_mov_b32_e32 v9, v121
	v_lshlrev_b64_e32 v[0:1], 4, v[24:25]
	v_dual_mov_b32 v11, v121 :: v_dual_add_nc_u32 v8, 0x2d8, v120
	v_dual_mov_b32 v23, v121 :: v_dual_add_nc_u32 v10, 0x310, v120
	v_add_nc_u32_e32 v22, 0x348, v120
	s_delay_alu instid0(VALU_DEP_4)
	v_add_co_u32 v16, vcc_lo, v30, v0
	s_wait_alu 0xfffd
	v_add_co_ci_u32_e32 v17, vcc_lo, v31, v1, vcc_lo
	ds_load_b128 v[0:3], v28 offset:10752
	ds_load_b128 v[4:7], v28 offset:11648
	v_lshlrev_b64_e32 v[18:19], 4, v[8:9]
	v_lshlrev_b64_e32 v[20:21], 4, v[10:11]
	ds_load_b128 v[8:11], v28 offset:12544
	ds_load_b128 v[12:15], v28 offset:13440
	v_lshlrev_b64_e32 v[22:23], 4, v[22:23]
	v_add_nc_u32_e32 v24, 0x380, v120
	v_add_co_u32 v18, vcc_lo, v30, v18
	s_wait_alu 0xfffd
	v_add_co_ci_u32_e32 v19, vcc_lo, v31, v19, vcc_lo
	v_add_co_u32 v20, vcc_lo, v30, v20
	s_wait_alu 0xfffd
	v_add_co_ci_u32_e32 v21, vcc_lo, v31, v21, vcc_lo
	;; [unrolled: 3-line block ×3, first 2 shown]
	s_wait_dscnt 0x3
	global_store_b128 v[16:17], v[0:3], off
	s_wait_dscnt 0x2
	global_store_b128 v[18:19], v[4:7], off
	;; [unrolled: 2-line block ×4, first 2 shown]
	v_mov_b32_e32 v11, v121
	v_lshlrev_b64_e32 v[0:1], 4, v[24:25]
	v_dual_mov_b32 v23, v121 :: v_dual_add_nc_u32 v8, 0x3b8, v120
	v_dual_mov_b32 v9, v121 :: v_dual_add_nc_u32 v10, 0x3f0, v120
	v_add_nc_u32_e32 v22, 0x428, v120
	s_delay_alu instid0(VALU_DEP_4)
	v_add_co_u32 v16, vcc_lo, v30, v0
	s_wait_alu 0xfffd
	v_add_co_ci_u32_e32 v17, vcc_lo, v31, v1, vcc_lo
	ds_load_b128 v[0:3], v28 offset:14336
	ds_load_b128 v[4:7], v28 offset:15232
	v_lshlrev_b64_e32 v[18:19], 4, v[8:9]
	v_lshlrev_b64_e32 v[20:21], 4, v[10:11]
	ds_load_b128 v[8:11], v28 offset:16128
	ds_load_b128 v[12:15], v28 offset:17024
	v_lshlrev_b64_e32 v[22:23], 4, v[22:23]
	v_add_nc_u32_e32 v24, 0x460, v120
	v_add_co_u32 v18, vcc_lo, v30, v18
	s_wait_alu 0xfffd
	v_add_co_ci_u32_e32 v19, vcc_lo, v31, v19, vcc_lo
	v_add_co_u32 v20, vcc_lo, v30, v20
	s_wait_alu 0xfffd
	v_add_co_ci_u32_e32 v21, vcc_lo, v31, v21, vcc_lo
	v_add_co_u32 v22, vcc_lo, v30, v22
	s_wait_dscnt 0x3
	global_store_b128 v[16:17], v[0:3], off
	s_wait_dscnt 0x2
	global_store_b128 v[18:19], v[4:7], off
	v_dual_mov_b32 v3, v121 :: v_dual_add_nc_u32 v2, 0x498, v120
	s_wait_alu 0xfffd
	v_add_co_ci_u32_e32 v23, vcc_lo, v31, v23, vcc_lo
	v_lshlrev_b64_e32 v[0:1], 4, v[24:25]
	s_wait_dscnt 0x1
	global_store_b128 v[20:21], v[8:11], off
	s_wait_dscnt 0x0
	global_store_b128 v[22:23], v[12:15], off
	v_mov_b32_e32 v11, v121
	v_lshlrev_b64_e32 v[8:9], 4, v[2:3]
	v_add_nc_u32_e32 v10, 0x4d0, v120
	v_add_co_u32 v20, vcc_lo, v30, v0
	s_wait_alu 0xfffd
	v_add_co_ci_u32_e32 v21, vcc_lo, v31, v1, vcc_lo
	s_delay_alu instid0(VALU_DEP_4)
	v_add_co_u32 v22, vcc_lo, v30, v8
	ds_load_b128 v[0:3], v28 offset:17920
	ds_load_b128 v[4:7], v28 offset:18816
	s_wait_alu 0xfffd
	v_add_co_ci_u32_e32 v23, vcc_lo, v31, v9, vcc_lo
	v_lshlrev_b64_e32 v[26:27], 4, v[10:11]
	ds_load_b128 v[8:11], v28 offset:19712
	ds_load_b128 v[12:15], v28 offset:20608
	ds_load_b128 v[16:19], v28 offset:21504
	v_add_nc_u32_e32 v24, 0x508, v120
	v_add_nc_u32_e32 v120, 0x540, v120
	v_add_co_u32 v26, vcc_lo, v30, v26
	s_delay_alu instid0(VALU_DEP_3) | instskip(NEXT) | instid1(VALU_DEP_3)
	v_lshlrev_b64_e32 v[24:25], 4, v[24:25]
	v_lshlrev_b64_e32 v[28:29], 4, v[120:121]
	s_wait_alu 0xfffd
	v_add_co_ci_u32_e32 v27, vcc_lo, v31, v27, vcc_lo
	s_delay_alu instid0(VALU_DEP_3)
	v_add_co_u32 v24, vcc_lo, v30, v24
	s_wait_alu 0xfffd
	v_add_co_ci_u32_e32 v25, vcc_lo, v31, v25, vcc_lo
	v_add_co_u32 v28, vcc_lo, v30, v28
	s_wait_alu 0xfffd
	v_add_co_ci_u32_e32 v29, vcc_lo, v31, v29, vcc_lo
	s_wait_dscnt 0x4
	global_store_b128 v[20:21], v[0:3], off
	s_wait_dscnt 0x3
	global_store_b128 v[22:23], v[4:7], off
	;; [unrolled: 2-line block ×5, first 2 shown]
.LBB0_35:
	s_nop 0
	s_sendmsg sendmsg(MSG_DEALLOC_VGPRS)
	s_endpgm
	.section	.rodata,"a",@progbits
	.p2align	6, 0x0
	.amdhsa_kernel fft_rtc_fwd_len1400_factors_2_2_2_5_7_5_wgs_56_tpt_56_halfLds_dp_ip_CI_unitstride_sbrr_C2R_dirReg
		.amdhsa_group_segment_fixed_size 0
		.amdhsa_private_segment_fixed_size 0
		.amdhsa_kernarg_size 88
		.amdhsa_user_sgpr_count 2
		.amdhsa_user_sgpr_dispatch_ptr 0
		.amdhsa_user_sgpr_queue_ptr 0
		.amdhsa_user_sgpr_kernarg_segment_ptr 1
		.amdhsa_user_sgpr_dispatch_id 0
		.amdhsa_user_sgpr_private_segment_size 0
		.amdhsa_wavefront_size32 1
		.amdhsa_uses_dynamic_stack 0
		.amdhsa_enable_private_segment 0
		.amdhsa_system_sgpr_workgroup_id_x 1
		.amdhsa_system_sgpr_workgroup_id_y 0
		.amdhsa_system_sgpr_workgroup_id_z 0
		.amdhsa_system_sgpr_workgroup_info 0
		.amdhsa_system_vgpr_workitem_id 0
		.amdhsa_next_free_vgpr 253
		.amdhsa_next_free_sgpr 32
		.amdhsa_reserve_vcc 1
		.amdhsa_float_round_mode_32 0
		.amdhsa_float_round_mode_16_64 0
		.amdhsa_float_denorm_mode_32 3
		.amdhsa_float_denorm_mode_16_64 3
		.amdhsa_fp16_overflow 0
		.amdhsa_workgroup_processor_mode 1
		.amdhsa_memory_ordered 1
		.amdhsa_forward_progress 0
		.amdhsa_round_robin_scheduling 0
		.amdhsa_exception_fp_ieee_invalid_op 0
		.amdhsa_exception_fp_denorm_src 0
		.amdhsa_exception_fp_ieee_div_zero 0
		.amdhsa_exception_fp_ieee_overflow 0
		.amdhsa_exception_fp_ieee_underflow 0
		.amdhsa_exception_fp_ieee_inexact 0
		.amdhsa_exception_int_div_zero 0
	.end_amdhsa_kernel
	.text
.Lfunc_end0:
	.size	fft_rtc_fwd_len1400_factors_2_2_2_5_7_5_wgs_56_tpt_56_halfLds_dp_ip_CI_unitstride_sbrr_C2R_dirReg, .Lfunc_end0-fft_rtc_fwd_len1400_factors_2_2_2_5_7_5_wgs_56_tpt_56_halfLds_dp_ip_CI_unitstride_sbrr_C2R_dirReg
                                        ; -- End function
	.section	.AMDGPU.csdata,"",@progbits
; Kernel info:
; codeLenInByte = 20448
; NumSgprs: 34
; NumVgprs: 253
; ScratchSize: 0
; MemoryBound: 0
; FloatMode: 240
; IeeeMode: 1
; LDSByteSize: 0 bytes/workgroup (compile time only)
; SGPRBlocks: 4
; VGPRBlocks: 31
; NumSGPRsForWavesPerEU: 34
; NumVGPRsForWavesPerEU: 253
; Occupancy: 5
; WaveLimiterHint : 1
; COMPUTE_PGM_RSRC2:SCRATCH_EN: 0
; COMPUTE_PGM_RSRC2:USER_SGPR: 2
; COMPUTE_PGM_RSRC2:TRAP_HANDLER: 0
; COMPUTE_PGM_RSRC2:TGID_X_EN: 1
; COMPUTE_PGM_RSRC2:TGID_Y_EN: 0
; COMPUTE_PGM_RSRC2:TGID_Z_EN: 0
; COMPUTE_PGM_RSRC2:TIDIG_COMP_CNT: 0
	.text
	.p2alignl 7, 3214868480
	.fill 96, 4, 3214868480
	.type	__hip_cuid_a221770a75b2ed2b,@object ; @__hip_cuid_a221770a75b2ed2b
	.section	.bss,"aw",@nobits
	.globl	__hip_cuid_a221770a75b2ed2b
__hip_cuid_a221770a75b2ed2b:
	.byte	0                               ; 0x0
	.size	__hip_cuid_a221770a75b2ed2b, 1

	.ident	"AMD clang version 19.0.0git (https://github.com/RadeonOpenCompute/llvm-project roc-6.4.0 25133 c7fe45cf4b819c5991fe208aaa96edf142730f1d)"
	.section	".note.GNU-stack","",@progbits
	.addrsig
	.addrsig_sym __hip_cuid_a221770a75b2ed2b
	.amdgpu_metadata
---
amdhsa.kernels:
  - .args:
      - .actual_access:  read_only
        .address_space:  global
        .offset:         0
        .size:           8
        .value_kind:     global_buffer
      - .offset:         8
        .size:           8
        .value_kind:     by_value
      - .actual_access:  read_only
        .address_space:  global
        .offset:         16
        .size:           8
        .value_kind:     global_buffer
      - .actual_access:  read_only
        .address_space:  global
        .offset:         24
        .size:           8
        .value_kind:     global_buffer
      - .offset:         32
        .size:           8
        .value_kind:     by_value
      - .actual_access:  read_only
        .address_space:  global
        .offset:         40
        .size:           8
        .value_kind:     global_buffer
      - .actual_access:  read_only
        .address_space:  global
        .offset:         48
        .size:           8
        .value_kind:     global_buffer
      - .offset:         56
        .size:           4
        .value_kind:     by_value
      - .actual_access:  read_only
        .address_space:  global
        .offset:         64
        .size:           8
        .value_kind:     global_buffer
      - .actual_access:  read_only
        .address_space:  global
        .offset:         72
        .size:           8
        .value_kind:     global_buffer
      - .address_space:  global
        .offset:         80
        .size:           8
        .value_kind:     global_buffer
    .group_segment_fixed_size: 0
    .kernarg_segment_align: 8
    .kernarg_segment_size: 88
    .language:       OpenCL C
    .language_version:
      - 2
      - 0
    .max_flat_workgroup_size: 56
    .name:           fft_rtc_fwd_len1400_factors_2_2_2_5_7_5_wgs_56_tpt_56_halfLds_dp_ip_CI_unitstride_sbrr_C2R_dirReg
    .private_segment_fixed_size: 0
    .sgpr_count:     34
    .sgpr_spill_count: 0
    .symbol:         fft_rtc_fwd_len1400_factors_2_2_2_5_7_5_wgs_56_tpt_56_halfLds_dp_ip_CI_unitstride_sbrr_C2R_dirReg.kd
    .uniform_work_group_size: 1
    .uses_dynamic_stack: false
    .vgpr_count:     253
    .vgpr_spill_count: 0
    .wavefront_size: 32
    .workgroup_processor_mode: 1
amdhsa.target:   amdgcn-amd-amdhsa--gfx1201
amdhsa.version:
  - 1
  - 2
...

	.end_amdgpu_metadata
